;; amdgpu-corpus repo=ROCm/rocFFT kind=compiled arch=gfx1030 opt=O3
	.text
	.amdgcn_target "amdgcn-amd-amdhsa--gfx1030"
	.amdhsa_code_object_version 6
	.protected	fft_rtc_fwd_len2160_factors_10_6_6_6_wgs_60_tpt_60_halfLds_half_ip_CI_sbrr_dirReg ; -- Begin function fft_rtc_fwd_len2160_factors_10_6_6_6_wgs_60_tpt_60_halfLds_half_ip_CI_sbrr_dirReg
	.globl	fft_rtc_fwd_len2160_factors_10_6_6_6_wgs_60_tpt_60_halfLds_half_ip_CI_sbrr_dirReg
	.p2align	8
	.type	fft_rtc_fwd_len2160_factors_10_6_6_6_wgs_60_tpt_60_halfLds_half_ip_CI_sbrr_dirReg,@function
fft_rtc_fwd_len2160_factors_10_6_6_6_wgs_60_tpt_60_halfLds_half_ip_CI_sbrr_dirReg: ; @fft_rtc_fwd_len2160_factors_10_6_6_6_wgs_60_tpt_60_halfLds_half_ip_CI_sbrr_dirReg
; %bb.0:
	s_clause 0x2
	s_load_dwordx2 s[14:15], s[4:5], 0x18
	s_load_dwordx4 s[8:11], s[4:5], 0x0
	s_load_dwordx2 s[12:13], s[4:5], 0x50
	v_mul_u32_u24_e32 v1, 0x445, v0
	v_mov_b32_e32 v3, 0
	v_add_nc_u32_sdwa v5, s6, v1 dst_sel:DWORD dst_unused:UNUSED_PAD src0_sel:DWORD src1_sel:WORD_1
	v_mov_b32_e32 v1, 0
	v_mov_b32_e32 v6, v3
	v_mov_b32_e32 v2, 0
	s_waitcnt lgkmcnt(0)
	s_load_dwordx2 s[2:3], s[14:15], 0x0
	v_cmp_lt_u64_e64 s0, s[10:11], 2
	s_and_b32 vcc_lo, exec_lo, s0
	s_cbranch_vccnz .LBB0_8
; %bb.1:
	s_load_dwordx2 s[0:1], s[4:5], 0x10
	v_mov_b32_e32 v1, 0
	s_add_u32 s6, s14, 8
	v_mov_b32_e32 v2, 0
	s_addc_u32 s7, s15, 0
	s_mov_b64 s[18:19], 1
	s_waitcnt lgkmcnt(0)
	s_add_u32 s16, s0, 8
	s_addc_u32 s17, s1, 0
.LBB0_2:                                ; =>This Inner Loop Header: Depth=1
	s_load_dwordx2 s[20:21], s[16:17], 0x0
                                        ; implicit-def: $vgpr7_vgpr8
	s_mov_b32 s0, exec_lo
	s_waitcnt lgkmcnt(0)
	v_or_b32_e32 v4, s21, v6
	v_cmpx_ne_u64_e32 0, v[3:4]
	s_xor_b32 s1, exec_lo, s0
	s_cbranch_execz .LBB0_4
; %bb.3:                                ;   in Loop: Header=BB0_2 Depth=1
	v_cvt_f32_u32_e32 v4, s20
	v_cvt_f32_u32_e32 v7, s21
	s_sub_u32 s0, 0, s20
	s_subb_u32 s22, 0, s21
	v_fmac_f32_e32 v4, 0x4f800000, v7
	v_rcp_f32_e32 v4, v4
	v_mul_f32_e32 v4, 0x5f7ffffc, v4
	v_mul_f32_e32 v7, 0x2f800000, v4
	v_trunc_f32_e32 v7, v7
	v_fmac_f32_e32 v4, 0xcf800000, v7
	v_cvt_u32_f32_e32 v7, v7
	v_cvt_u32_f32_e32 v4, v4
	v_mul_lo_u32 v8, s0, v7
	v_mul_hi_u32 v9, s0, v4
	v_mul_lo_u32 v10, s22, v4
	v_add_nc_u32_e32 v8, v9, v8
	v_mul_lo_u32 v9, s0, v4
	v_add_nc_u32_e32 v8, v8, v10
	v_mul_hi_u32 v10, v4, v9
	v_mul_lo_u32 v11, v4, v8
	v_mul_hi_u32 v12, v4, v8
	v_mul_hi_u32 v13, v7, v9
	v_mul_lo_u32 v9, v7, v9
	v_mul_hi_u32 v14, v7, v8
	v_mul_lo_u32 v8, v7, v8
	v_add_co_u32 v10, vcc_lo, v10, v11
	v_add_co_ci_u32_e32 v11, vcc_lo, 0, v12, vcc_lo
	v_add_co_u32 v9, vcc_lo, v10, v9
	v_add_co_ci_u32_e32 v9, vcc_lo, v11, v13, vcc_lo
	v_add_co_ci_u32_e32 v10, vcc_lo, 0, v14, vcc_lo
	v_add_co_u32 v8, vcc_lo, v9, v8
	v_add_co_ci_u32_e32 v9, vcc_lo, 0, v10, vcc_lo
	v_add_co_u32 v4, vcc_lo, v4, v8
	v_add_co_ci_u32_e32 v7, vcc_lo, v7, v9, vcc_lo
	v_mul_hi_u32 v8, s0, v4
	v_mul_lo_u32 v10, s22, v4
	v_mul_lo_u32 v9, s0, v7
	v_add_nc_u32_e32 v8, v8, v9
	v_mul_lo_u32 v9, s0, v4
	v_add_nc_u32_e32 v8, v8, v10
	v_mul_hi_u32 v10, v4, v9
	v_mul_lo_u32 v11, v4, v8
	v_mul_hi_u32 v12, v4, v8
	v_mul_hi_u32 v13, v7, v9
	v_mul_lo_u32 v9, v7, v9
	v_mul_hi_u32 v14, v7, v8
	v_mul_lo_u32 v8, v7, v8
	v_add_co_u32 v10, vcc_lo, v10, v11
	v_add_co_ci_u32_e32 v11, vcc_lo, 0, v12, vcc_lo
	v_add_co_u32 v9, vcc_lo, v10, v9
	v_add_co_ci_u32_e32 v9, vcc_lo, v11, v13, vcc_lo
	v_add_co_ci_u32_e32 v10, vcc_lo, 0, v14, vcc_lo
	v_add_co_u32 v8, vcc_lo, v9, v8
	v_add_co_ci_u32_e32 v9, vcc_lo, 0, v10, vcc_lo
	v_add_co_u32 v4, vcc_lo, v4, v8
	v_add_co_ci_u32_e32 v11, vcc_lo, v7, v9, vcc_lo
	v_mul_hi_u32 v13, v5, v4
	v_mad_u64_u32 v[9:10], null, v6, v4, 0
	v_mad_u64_u32 v[7:8], null, v5, v11, 0
	;; [unrolled: 1-line block ×3, first 2 shown]
	v_add_co_u32 v4, vcc_lo, v13, v7
	v_add_co_ci_u32_e32 v7, vcc_lo, 0, v8, vcc_lo
	v_add_co_u32 v4, vcc_lo, v4, v9
	v_add_co_ci_u32_e32 v4, vcc_lo, v7, v10, vcc_lo
	v_add_co_ci_u32_e32 v7, vcc_lo, 0, v12, vcc_lo
	v_add_co_u32 v4, vcc_lo, v4, v11
	v_add_co_ci_u32_e32 v9, vcc_lo, 0, v7, vcc_lo
	v_mul_lo_u32 v10, s21, v4
	v_mad_u64_u32 v[7:8], null, s20, v4, 0
	v_mul_lo_u32 v11, s20, v9
	v_sub_co_u32 v7, vcc_lo, v5, v7
	v_add3_u32 v8, v8, v11, v10
	v_sub_nc_u32_e32 v10, v6, v8
	v_subrev_co_ci_u32_e64 v10, s0, s21, v10, vcc_lo
	v_add_co_u32 v11, s0, v4, 2
	v_add_co_ci_u32_e64 v12, s0, 0, v9, s0
	v_sub_co_u32 v13, s0, v7, s20
	v_sub_co_ci_u32_e32 v8, vcc_lo, v6, v8, vcc_lo
	v_subrev_co_ci_u32_e64 v10, s0, 0, v10, s0
	v_cmp_le_u32_e32 vcc_lo, s20, v13
	v_cmp_eq_u32_e64 s0, s21, v8
	v_cndmask_b32_e64 v13, 0, -1, vcc_lo
	v_cmp_le_u32_e32 vcc_lo, s21, v10
	v_cndmask_b32_e64 v14, 0, -1, vcc_lo
	v_cmp_le_u32_e32 vcc_lo, s20, v7
	;; [unrolled: 2-line block ×3, first 2 shown]
	v_cndmask_b32_e64 v15, 0, -1, vcc_lo
	v_cmp_eq_u32_e32 vcc_lo, s21, v10
	v_cndmask_b32_e64 v7, v15, v7, s0
	v_cndmask_b32_e32 v10, v14, v13, vcc_lo
	v_add_co_u32 v13, vcc_lo, v4, 1
	v_add_co_ci_u32_e32 v14, vcc_lo, 0, v9, vcc_lo
	v_cmp_ne_u32_e32 vcc_lo, 0, v10
	v_cndmask_b32_e32 v8, v14, v12, vcc_lo
	v_cndmask_b32_e32 v10, v13, v11, vcc_lo
	v_cmp_ne_u32_e32 vcc_lo, 0, v7
	v_cndmask_b32_e32 v8, v9, v8, vcc_lo
	v_cndmask_b32_e32 v7, v4, v10, vcc_lo
.LBB0_4:                                ;   in Loop: Header=BB0_2 Depth=1
	s_andn2_saveexec_b32 s0, s1
	s_cbranch_execz .LBB0_6
; %bb.5:                                ;   in Loop: Header=BB0_2 Depth=1
	v_cvt_f32_u32_e32 v4, s20
	s_sub_i32 s1, 0, s20
	v_rcp_iflag_f32_e32 v4, v4
	v_mul_f32_e32 v4, 0x4f7ffffe, v4
	v_cvt_u32_f32_e32 v4, v4
	v_mul_lo_u32 v7, s1, v4
	v_mul_hi_u32 v7, v4, v7
	v_add_nc_u32_e32 v4, v4, v7
	v_mul_hi_u32 v4, v5, v4
	v_mul_lo_u32 v7, v4, s20
	v_add_nc_u32_e32 v8, 1, v4
	v_sub_nc_u32_e32 v7, v5, v7
	v_subrev_nc_u32_e32 v9, s20, v7
	v_cmp_le_u32_e32 vcc_lo, s20, v7
	v_cndmask_b32_e32 v7, v7, v9, vcc_lo
	v_cndmask_b32_e32 v4, v4, v8, vcc_lo
	v_cmp_le_u32_e32 vcc_lo, s20, v7
	v_add_nc_u32_e32 v8, 1, v4
	v_cndmask_b32_e32 v7, v4, v8, vcc_lo
	v_mov_b32_e32 v8, v3
.LBB0_6:                                ;   in Loop: Header=BB0_2 Depth=1
	s_or_b32 exec_lo, exec_lo, s0
	s_load_dwordx2 s[0:1], s[6:7], 0x0
	v_mul_lo_u32 v4, v8, s20
	v_mul_lo_u32 v11, v7, s21
	v_mad_u64_u32 v[9:10], null, v7, s20, 0
	s_add_u32 s18, s18, 1
	s_addc_u32 s19, s19, 0
	s_add_u32 s6, s6, 8
	s_addc_u32 s7, s7, 0
	;; [unrolled: 2-line block ×3, first 2 shown]
	v_add3_u32 v4, v10, v11, v4
	v_sub_co_u32 v5, vcc_lo, v5, v9
	v_sub_co_ci_u32_e32 v4, vcc_lo, v6, v4, vcc_lo
	s_waitcnt lgkmcnt(0)
	v_mul_lo_u32 v6, s1, v5
	v_mul_lo_u32 v4, s0, v4
	v_mad_u64_u32 v[1:2], null, s0, v5, v[1:2]
	v_cmp_ge_u64_e64 s0, s[18:19], s[10:11]
	s_and_b32 vcc_lo, exec_lo, s0
	v_add3_u32 v2, v6, v2, v4
	s_cbranch_vccnz .LBB0_9
; %bb.7:                                ;   in Loop: Header=BB0_2 Depth=1
	v_mov_b32_e32 v5, v7
	v_mov_b32_e32 v6, v8
	s_branch .LBB0_2
.LBB0_8:
	v_mov_b32_e32 v8, v6
	v_mov_b32_e32 v7, v5
.LBB0_9:
	s_lshl_b64 s[0:1], s[10:11], 3
	v_mul_hi_u32 v3, 0x4444445, v0
	s_add_u32 s0, s14, s0
	s_addc_u32 s1, s15, s1
	s_load_dwordx2 s[0:1], s[0:1], 0x0
	s_load_dwordx2 s[4:5], s[4:5], 0x20
	v_mul_u32_u24_e32 v3, 60, v3
	v_sub_nc_u32_e32 v26, v0, v3
                                        ; implicit-def: $vgpr0
                                        ; implicit-def: $vgpr3
	v_add_nc_u32_e32 v30, 60, v26
	v_add_nc_u32_e32 v28, 0x78, v26
	s_waitcnt lgkmcnt(0)
	v_mul_lo_u32 v4, s0, v8
	v_mul_lo_u32 v5, s1, v7
	v_mad_u64_u32 v[1:2], null, s0, v7, v[1:2]
	v_cmp_gt_u64_e32 vcc_lo, s[4:5], v[7:8]
	v_cmp_le_u64_e64 s0, s[4:5], v[7:8]
	v_add3_u32 v2, v5, v2, v4
	s_and_saveexec_b32 s1, s0
	s_xor_b32 s0, exec_lo, s1
; %bb.10:
	v_add_nc_u32_e32 v0, 60, v26
	v_add_nc_u32_e32 v3, 0x78, v26
; %bb.11:
	s_or_saveexec_b32 s1, s0
	v_lshlrev_b64 v[24:25], 2, v[1:2]
	v_add_nc_u32_e32 v31, 0x438, v26
	v_add_nc_u32_e32 v29, 0x474, v26
	;; [unrolled: 1-line block ×3, first 2 shown]
                                        ; implicit-def: $vgpr23
                                        ; implicit-def: $vgpr41
                                        ; implicit-def: $vgpr34
                                        ; implicit-def: $vgpr35
                                        ; implicit-def: $vgpr37
                                        ; implicit-def: $vgpr22
                                        ; implicit-def: $vgpr38
                                        ; implicit-def: $vgpr12
                                        ; implicit-def: $vgpr17
                                        ; implicit-def: $vgpr54
                                        ; implicit-def: $vgpr49
                                        ; implicit-def: $vgpr44
                                        ; implicit-def: $vgpr50
                                        ; implicit-def: $vgpr42
                                        ; implicit-def: $vgpr51
                                        ; implicit-def: $vgpr20
                                        ; implicit-def: $vgpr52
                                        ; implicit-def: $vgpr19
                                        ; implicit-def: $vgpr48
                                        ; implicit-def: $vgpr53
                                        ; implicit-def: $vgpr56
                                        ; implicit-def: $vgpr46
                                        ; implicit-def: $vgpr57
                                        ; implicit-def: $vgpr9
                                        ; implicit-def: $vgpr58
                                        ; implicit-def: $vgpr14
                                        ; implicit-def: $vgpr59
                                        ; implicit-def: $vgpr18
                                        ; implicit-def: $vgpr55
                                        ; implicit-def: $vgpr47
                                        ; implicit-def: $vgpr62
                                        ; implicit-def: $vgpr10
                                        ; implicit-def: $vgpr63
                                        ; implicit-def: $vgpr4
                                        ; implicit-def: $vgpr64
                                        ; implicit-def: $vgpr6
                                        ; implicit-def: $vgpr65
                                        ; implicit-def: $vgpr8
                                        ; implicit-def: $vgpr60
                                        ; implicit-def: $vgpr66
                                        ; implicit-def: $vgpr36
                                        ; implicit-def: $vgpr33
                                        ; implicit-def: $vgpr39
                                        ; implicit-def: $vgpr43
                                        ; implicit-def: $vgpr67
                                        ; implicit-def: $vgpr32
                                        ; implicit-def: $vgpr21
                                        ; implicit-def: $vgpr40
                                        ; implicit-def: $vgpr15
                                        ; implicit-def: $vgpr61
                                        ; implicit-def: $vgpr45
                                        ; implicit-def: $vgpr16
                                        ; implicit-def: $vgpr11
                                        ; implicit-def: $vgpr13
                                        ; implicit-def: $vgpr68
                                        ; implicit-def: $vgpr1
                                        ; implicit-def: $vgpr7
                                        ; implicit-def: $vgpr2
                                        ; implicit-def: $vgpr5
                                        ; implicit-def: $vgpr72
	s_xor_b32 exec_lo, exec_lo, s1
	s_cbranch_execz .LBB0_15
; %bb.12:
	v_mad_u64_u32 v[1:2], null, s2, v26, 0
	v_add_nc_u32_e32 v8, 0xd8, v26
	v_add_nc_u32_e32 v11, 0x1b0, v26
	v_add_nc_u32_e32 v14, 0x288, v26
	v_add_nc_u32_e32 v16, 0x360, v26
	v_add_nc_u32_e32 v20, 0x510, v26
	v_mad_u64_u32 v[4:5], null, s2, v8, 0
	v_mov_b32_e32 v0, v2
	v_mad_u64_u32 v[6:7], null, s2, v11, 0
	v_add_nc_u32_e32 v32, 0x5e8, v26
	v_or_b32_e32 v34, 0x6c0, v26
	v_mad_u64_u32 v[2:3], null, s3, v26, v[0:1]
	v_add_co_u32 v0, s0, s12, v24
	v_mad_u64_u32 v[8:9], null, s3, v8, v[5:6]
	v_mov_b32_e32 v5, v7
	v_mad_u64_u32 v[9:10], null, s2, v14, 0
	v_lshlrev_b64 v[1:2], 2, v[1:2]
	v_add_co_ci_u32_e64 v3, s0, s13, v25, s0
	v_mad_u64_u32 v[11:12], null, s3, v11, v[5:6]
	v_mov_b32_e32 v5, v8
	v_add_co_u32 v1, s0, v0, v1
	v_add_co_ci_u32_e64 v2, s0, v3, v2, s0
	v_mov_b32_e32 v7, v10
	v_lshlrev_b64 v[4:5], 2, v[4:5]
	v_mad_u64_u32 v[12:13], null, s2, v16, 0
	global_load_dword v66, v[1:2], off
	v_mad_u64_u32 v[1:2], null, s3, v14, v[7:8]
	v_mov_b32_e32 v7, v11
	v_add_co_u32 v14, s0, v0, v4
	v_add_co_ci_u32_e64 v15, s0, v3, v5, s0
	v_lshlrev_b64 v[4:5], 2, v[6:7]
	v_mad_u64_u32 v[6:7], null, s2, v31, 0
	v_mov_b32_e32 v2, v13
	v_mov_b32_e32 v10, v1
	v_add_nc_u32_e32 v35, 0x798, v26
	v_add_nc_u32_e32 v36, 0x2c4, v26
	;; [unrolled: 1-line block ×3, first 2 shown]
	v_mad_u64_u32 v[1:2], null, s3, v16, v[2:3]
	v_mov_b32_e32 v2, v7
	v_add_co_u32 v16, s0, v0, v4
	v_add_co_ci_u32_e64 v17, s0, v3, v5, s0
	v_lshlrev_b64 v[4:5], 2, v[9:10]
	v_mad_u64_u32 v[10:11], null, s3, v31, v[2:3]
	v_mad_u64_u32 v[8:9], null, s2, v20, 0
	v_mov_b32_e32 v13, v1
	v_add_co_u32 v18, s0, v0, v4
	v_add_co_ci_u32_e64 v19, s0, v3, v5, s0
	v_lshlrev_b64 v[1:2], 2, v[12:13]
	v_mov_b32_e32 v7, v10
	v_mad_u64_u32 v[10:11], null, s2, v32, 0
	v_mad_u64_u32 v[12:13], null, s2, v34, 0
	v_mov_b32_e32 v4, v9
	v_mad_u64_u32 v[22:23], null, s2, v35, 0
	v_add_nc_u32_e32 v42, 0x7d4, v26
	v_or_b32_e32 v48, 0x300, v26
	v_mad_u64_u32 v[4:5], null, s3, v20, v[4:5]
	v_add_co_u32 v20, s0, v0, v1
	v_add_co_ci_u32_e64 v21, s0, v3, v2, s0
	v_mov_b32_e32 v1, v11
	v_mov_b32_e32 v2, v13
	;; [unrolled: 1-line block ×3, first 2 shown]
	v_lshlrev_b64 v[5:6], 2, v[6:7]
	v_add_nc_u32_e32 v49, 0x228, v26
	s_mov_b32 s4, exec_lo
	v_mad_u64_u32 v[32:33], null, s3, v32, v[1:2]
	v_mad_u64_u32 v[1:2], null, s3, v34, v[2:3]
	v_mov_b32_e32 v2, v23
	v_lshlrev_b64 v[7:8], 2, v[8:9]
	v_add_co_u32 v5, s0, v0, v5
	v_mov_b32_e32 v11, v32
	v_mad_u64_u32 v[32:33], null, s3, v35, v[2:3]
	v_mov_b32_e32 v13, v1
	v_add_co_ci_u32_e64 v6, s0, v3, v6, s0
	v_lshlrev_b64 v[1:2], 2, v[10:11]
	v_add_co_u32 v7, s0, v0, v7
	v_lshlrev_b64 v[9:10], 2, v[12:13]
	v_mad_u64_u32 v[11:12], null, s2, v30, 0
	v_add_co_ci_u32_e64 v8, s0, v3, v8, s0
	v_add_co_u32 v1, s0, v0, v1
	v_add_co_ci_u32_e64 v2, s0, v3, v2, s0
	v_mov_b32_e32 v4, v12
	v_add_nc_u32_e32 v34, 0x114, v26
	v_mov_b32_e32 v23, v32
	global_load_dword v1, v[1:2], off
	v_add_nc_u32_e32 v35, 0x1ec, v26
	v_mad_u64_u32 v[12:13], null, s3, v30, v[4:5]
	s_clause 0x5
	global_load_dword v4, v[7:8], off
	global_load_dword v2, v[5:6], off
	;; [unrolled: 1-line block ×6, first 2 shown]
	v_mad_u64_u32 v[32:33], null, s2, v34, 0
	v_lshlrev_b64 v[22:23], 2, v[22:23]
	v_mad_u64_u32 v[18:19], null, s2, v35, 0
	v_add_co_u32 v9, s0, v0, v9
	v_lshlrev_b64 v[11:12], 2, v[11:12]
	v_mov_b32_e32 v7, v33
	v_add_co_ci_u32_e64 v10, s0, v3, v10, s0
	v_add_co_u32 v22, s0, v0, v22
	v_add_co_ci_u32_e64 v23, s0, v3, v23, s0
	v_add_co_u32 v11, s0, v0, v11
	v_add_co_ci_u32_e64 v12, s0, v3, v12, s0
                                        ; implicit-def: $vgpr67
                                        ; implicit-def: $vgpr54
	s_waitcnt vmcnt(1)
	v_mad_u64_u32 v[13:14], null, s3, v34, v[7:8]
	v_mov_b32_e32 v7, v19
	v_mad_u64_u32 v[14:15], null, s2, v36, 0
	v_add_nc_u32_e32 v34, 0x39c, v26
	v_mad_u64_u32 v[16:17], null, s3, v35, v[7:8]
	s_clause 0x2
	global_load_dword v10, v[9:10], off
	global_load_dword v7, v[22:23], off
	;; [unrolled: 1-line block ×3, first 2 shown]
	v_mov_b32_e32 v33, v13
	v_mov_b32_e32 v13, v15
	v_mad_u64_u32 v[20:21], null, s2, v34, 0
	v_lshlrev_b64 v[11:12], 2, v[32:33]
	v_mad_u64_u32 v[22:23], null, s3, v36, v[13:14]
	v_mov_b32_e32 v19, v16
	v_mad_u64_u32 v[36:37], null, s2, v40, 0
	v_mov_b32_e32 v9, v21
	v_add_co_u32 v16, s0, v0, v11
	v_add_co_ci_u32_e64 v17, s0, v3, v12, s0
	v_lshlrev_b64 v[11:12], 2, v[18:19]
	v_mov_b32_e32 v15, v22
	v_mad_u64_u32 v[22:23], null, s2, v29, 0
	v_add_co_u32 v32, s0, v0, v11
	v_add_co_ci_u32_e64 v33, s0, v3, v12, s0
	v_lshlrev_b64 v[11:12], 2, v[14:15]
	s_waitcnt vmcnt(2)
	v_mad_u64_u32 v[18:19], null, s3, v34, v[9:10]
	v_add_nc_u32_e32 v34, 0x54c, v26
	v_mov_b32_e32 v9, v23
	v_mad_u64_u32 v[13:14], null, s2, v34, 0
	v_mov_b32_e32 v21, v18
	v_add_co_u32 v18, s0, v0, v11
	v_add_co_ci_u32_e64 v19, s0, v3, v12, s0
	v_lshlrev_b64 v[11:12], 2, v[20:21]
	v_mad_u64_u32 v[20:21], null, s3, v29, v[9:10]
	v_add_nc_u32_e32 v21, 0x624, v26
	v_mad_u64_u32 v[14:15], null, s3, v34, v[14:15]
	v_add_co_u32 v38, s0, v0, v11
	v_mad_u64_u32 v[34:35], null, s2, v21, 0
	v_add_co_ci_u32_e64 v39, s0, v3, v12, s0
	v_mad_u64_u32 v[11:12], null, s2, v42, 0
	v_mov_b32_e32 v15, v37
	v_lshlrev_b64 v[13:14], 2, v[13:14]
	v_mov_b32_e32 v9, v35
	v_mov_b32_e32 v23, v20
	v_mad_u64_u32 v[40:41], null, s3, v40, v[15:16]
	v_mad_u64_u32 v[20:21], null, s3, v21, v[9:10]
	v_mov_b32_e32 v9, v12
	v_add_co_u32 v12, s0, v0, v13
	v_lshlrev_b64 v[21:22], 2, v[22:23]
	v_add_co_ci_u32_e64 v13, s0, v3, v14, s0
	v_mad_u64_u32 v[14:15], null, s3, v42, v[9:10]
	v_mov_b32_e32 v35, v20
	v_mov_b32_e32 v37, v40
	v_add_co_u32 v20, s0, v0, v21
	v_add_co_ci_u32_e64 v21, s0, v3, v22, s0
	v_lshlrev_b64 v[22:23], 2, v[34:35]
	global_load_dword v9, v[12:13], off
	v_lshlrev_b64 v[34:35], 2, v[36:37]
	v_mov_b32_e32 v12, v14
	v_mad_u64_u32 v[36:37], null, s2, v28, 0
	v_add_nc_u32_e32 v14, 0x150, v26
	v_add_co_u32 v22, s0, v0, v22
	v_lshlrev_b64 v[11:12], 2, v[11:12]
	v_add_co_ci_u32_e64 v23, s0, v3, v23, s0
	v_mad_u64_u32 v[40:41], null, s2, v14, 0
	v_add_co_u32 v34, s0, v0, v34
	v_mov_b32_e32 v13, v37
	v_add_co_ci_u32_e64 v35, s0, v3, v35, s0
	v_add_co_u32 v42, s0, v0, v11
	v_add_co_ci_u32_e64 v43, s0, v3, v12, s0
	v_mad_u64_u32 v[12:13], null, s3, v28, v[13:14]
	v_mov_b32_e32 v13, v41
	global_load_dword v11, v[20:21], off
	v_mad_u64_u32 v[20:21], null, s2, v48, 0
	v_mad_u64_u32 v[44:45], null, s3, v14, v[13:14]
	s_clause 0x3
	global_load_dword v14, v[38:39], off
	global_load_dword v13, v[18:19], off
	global_load_dword v18, v[32:33], off
	global_load_dword v68, v[16:17], off
	v_mad_u64_u32 v[45:46], null, s2, v49, 0
	v_mov_b32_e32 v15, v21
	v_mov_b32_e32 v37, v12
	v_add_nc_u32_e32 v19, 0x3d8, v26
	v_mov_b32_e32 v41, v44
	v_mad_u64_u32 v[15:16], null, s3, v48, v[15:16]
	v_mov_b32_e32 v12, v46
	v_lshlrev_b64 v[16:17], 2, v[36:37]
	v_lshlrev_b64 v[32:33], 2, v[40:41]
	v_add_nc_u32_e32 v48, 0x810, v26
	v_mov_b32_e32 v21, v15
	v_add_co_u32 v39, s0, v0, v16
	v_add_co_ci_u32_e64 v40, s0, v3, v17, s0
	v_lshlrev_b64 v[15:16], 2, v[20:21]
	v_add_co_u32 v20, s0, v0, v32
	v_add_co_ci_u32_e64 v21, s0, v3, v33, s0
	s_waitcnt vmcnt(2)
	v_mad_u64_u32 v[36:37], null, s3, v49, v[12:13]
	v_mad_u64_u32 v[37:38], null, s2, v19, 0
	v_mov_b32_e32 v46, v36
	v_mov_b32_e32 v12, v38
	v_lshlrev_b64 v[32:33], 2, v[45:46]
	v_mad_u64_u32 v[44:45], null, s3, v19, v[12:13]
	v_add_co_u32 v45, s0, v0, v15
	v_add_co_ci_u32_e64 v46, s0, v3, v16, s0
	v_add_co_u32 v32, s0, v0, v32
	v_add_co_ci_u32_e64 v33, s0, v3, v33, s0
	s_clause 0x6
	global_load_dword v16, v[42:43], off
	global_load_dword v53, v[39:40], off
	;; [unrolled: 1-line block ×7, first 2 shown]
	v_add_nc_u32_e32 v39, 0x588, v26
	v_mad_u64_u32 v[22:23], null, s2, v27, 0
	v_add_nc_u32_e32 v42, 0x660, v26
	v_mov_b32_e32 v38, v44
	v_mad_u64_u32 v[32:33], null, s2, v39, 0
	v_add_nc_u32_e32 v44, 0x738, v26
	v_mad_u64_u32 v[34:35], null, s2, v42, 0
	v_mov_b32_e32 v12, v23
	v_lshlrev_b64 v[20:21], 2, v[37:38]
	v_mad_u64_u32 v[36:37], null, s3, v27, v[12:13]
	v_mov_b32_e32 v12, v33
	v_mad_u64_u32 v[37:38], null, s2, v44, 0
	v_mov_b32_e32 v17, v35
	v_add_co_u32 v20, s0, v0, v20
	v_mad_u64_u32 v[39:40], null, s3, v39, v[12:13]
	v_mad_u64_u32 v[40:41], null, s2, v48, 0
	s_waitcnt vmcnt(8)
	v_mad_u64_u32 v[42:43], null, s3, v42, v[17:18]
	v_mov_b32_e32 v12, v38
	v_add_co_ci_u32_e64 v21, s0, v3, v21, s0
	v_mov_b32_e32 v33, v39
	v_mov_b32_e32 v23, v36
	v_mad_u64_u32 v[38:39], null, s3, v44, v[12:13]
	v_mov_b32_e32 v12, v41
	v_mov_b32_e32 v35, v42
	v_lshlrev_b64 v[32:33], 2, v[32:33]
	global_load_dword v20, v[20:21], off
	v_lshlrev_b64 v[21:22], 2, v[22:23]
	v_mad_u64_u32 v[41:42], null, s3, v48, v[12:13]
	v_lshlrev_b64 v[34:35], 2, v[34:35]
	v_add_co_u32 v42, s0, v0, v32
	v_add_co_ci_u32_e64 v43, s0, v3, v33, s0
	v_lshlrev_b64 v[32:33], 2, v[37:38]
	v_add_co_u32 v34, s0, v0, v34
	v_lshlrev_b64 v[36:37], 2, v[40:41]
	v_add_co_ci_u32_e64 v35, s0, v3, v35, s0
	v_add_co_u32 v32, s0, v0, v32
	v_add_co_ci_u32_e64 v33, s0, v3, v33, s0
	v_add_co_u32 v36, s0, v0, v36
	;; [unrolled: 2-line block ×3, first 2 shown]
	v_add_co_ci_u32_e64 v39, s0, v3, v22, s0
	s_clause 0x4
	global_load_dword v21, v[36:37], off
	global_load_dword v44, v[32:33], off
	global_load_dword v32, v[34:35], off
	global_load_dword v42, v[42:43], off
	global_load_dword v40, v[38:39], off
                                        ; implicit-def: $vgpr43
                                        ; implicit-def: $vgpr39
                                        ; implicit-def: $vgpr33
                                        ; implicit-def: $vgpr36
                                        ; implicit-def: $vgpr17
                                        ; implicit-def: $vgpr12
                                        ; implicit-def: $vgpr38
                                        ; implicit-def: $vgpr22
                                        ; implicit-def: $vgpr37
                                        ; implicit-def: $vgpr35
                                        ; implicit-def: $vgpr34
                                        ; implicit-def: $vgpr41
                                        ; implicit-def: $vgpr23
	v_cmpx_gt_u32_e32 36, v26
	s_cbranch_execz .LBB0_14
; %bb.13:
	v_add_nc_u32_e32 v37, 0xb4, v26
	v_add_nc_u32_e32 v38, 0x18c, v26
	;; [unrolled: 1-line block ×5, first 2 shown]
	v_mad_u64_u32 v[22:23], null, s2, v37, 0
	v_mad_u64_u32 v[33:34], null, s2, v38, 0
	;; [unrolled: 1-line block ×4, first 2 shown]
	v_mov_b32_e32 v12, v23
	v_mov_b32_e32 v17, v34
	;; [unrolled: 1-line block ×3, first 2 shown]
	v_mad_u64_u32 v[36:37], null, s3, v37, v[12:13]
	v_mad_u64_u32 v[37:38], null, s3, v38, v[17:18]
	;; [unrolled: 1-line block ×4, first 2 shown]
	v_mov_b32_e32 v23, v36
	v_mov_b32_e32 v17, v49
	v_mov_b32_e32 v34, v37
	v_add_nc_u32_e32 v41, 0x5c4, v26
	v_mov_b32_e32 v12, v39
	v_lshlrev_b64 v[22:23], 2, v[22:23]
	v_mov_b32_e32 v36, v50
	v_lshlrev_b64 v[33:34], 2, v[33:34]
	v_mad_u64_u32 v[49:50], null, s3, v43, v[12:13]
	v_add_co_u32 v22, s0, v0, v22
	v_lshlrev_b64 v[35:36], 2, v[35:36]
	v_add_co_ci_u32_e64 v23, s0, v3, v23, s0
	v_add_co_u32 v33, s0, v0, v33
	v_add_co_ci_u32_e64 v34, s0, v3, v34, s0
	global_load_dword v54, v[22:23], off
	v_add_co_u32 v22, s0, v0, v35
	v_add_co_ci_u32_e64 v23, s0, v3, v36, s0
	v_mov_b32_e32 v39, v49
	v_add_nc_u32_e32 v43, 0x4ec, v26
	v_mad_u64_u32 v[35:36], null, s3, v52, v[17:18]
	global_load_dword v12, v[22:23], off
	v_lshlrev_b64 v[22:23], 2, v[38:39]
	v_mad_u64_u32 v[38:39], null, s2, v43, 0
	v_mad_u64_u32 v[36:37], null, s2, v41, 0
	v_mov_b32_e32 v49, v35
	v_add_co_u32 v50, s0, v0, v22
	v_add_co_ci_u32_e64 v51, s0, v3, v23, s0
	v_mov_b32_e32 v35, v39
	v_add_nc_u32_e32 v39, 0x774, v26
	v_mov_b32_e32 v17, v37
	v_lshlrev_b64 v[22:23], 2, v[48:49]
	v_add_nc_u32_e32 v52, 0x69c, v26
	v_mad_u64_u32 v[59:60], null, s3, v43, v[35:36]
	v_mad_u64_u32 v[55:56], null, s2, v39, 0
	;; [unrolled: 1-line block ×3, first 2 shown]
	v_add_nc_u32_e32 v41, 0x84c, v26
	v_mad_u64_u32 v[57:58], null, s2, v52, 0
	v_add_co_u32 v22, s0, v0, v22
	v_mov_b32_e32 v17, v56
	v_mad_u64_u32 v[62:63], null, s2, v41, 0
	v_mov_b32_e32 v37, v48
	v_mov_b32_e32 v35, v58
	v_mad_u64_u32 v[48:49], null, s3, v39, v[17:18]
	v_mov_b32_e32 v39, v59
	v_lshlrev_b64 v[36:37], 2, v[36:37]
	v_mov_b32_e32 v17, v63
	v_add_co_ci_u32_e64 v23, s0, v3, v23, s0
	v_lshlrev_b64 v[38:39], 2, v[38:39]
	v_mov_b32_e32 v56, v48
	v_mad_u64_u32 v[48:49], null, s3, v41, v[17:18]
	v_mad_u64_u32 v[58:59], null, s3, v52, v[35:36]
	v_add_co_u32 v35, s0, v0, v36
	v_lshlrev_b64 v[55:56], 2, v[55:56]
	v_add_co_ci_u32_e64 v36, s0, v3, v37, s0
	v_add_co_u32 v37, s0, v0, v38
	v_mov_b32_e32 v63, v48
	v_lshlrev_b64 v[57:58], 2, v[57:58]
	v_add_co_ci_u32_e64 v38, s0, v3, v39, s0
	v_add_co_u32 v48, s0, v0, v55
	v_add_co_ci_u32_e64 v49, s0, v3, v56, s0
	v_lshlrev_b64 v[55:56], 2, v[62:63]
	v_add_co_u32 v57, s0, v0, v57
	v_add_co_ci_u32_e64 v58, s0, v3, v58, s0
	s_clause 0x2
	global_load_dword v22, v[22:23], off
	global_load_dword v35, v[35:36], off
	;; [unrolled: 1-line block ×3, first 2 shown]
	v_add_co_u32 v48, s0, v0, v55
	v_add_co_ci_u32_e64 v49, s0, v3, v56, s0
	s_clause 0x4
	global_load_dword v36, v[57:58], off
	global_load_dword v39, v[37:38], off
	;; [unrolled: 1-line block ×5, first 2 shown]
	s_waitcnt vmcnt(9)
	v_lshrrev_b32_e32 v17, 16, v54
	s_waitcnt vmcnt(8)
	v_lshrrev_b32_e32 v38, 16, v12
	;; [unrolled: 2-line block ×5, first 2 shown]
.LBB0_14:
	s_or_b32 exec_lo, exec_lo, s4
	v_lshrrev_b32_e32 v60, 16, v66
	v_lshrrev_b32_e32 v65, 16, v8
	;; [unrolled: 1-line block ×9, first 2 shown]
	s_waitcnt vmcnt(7)
	v_lshrrev_b32_e32 v56, 16, v46
	v_lshrrev_b32_e32 v48, 16, v53
	;; [unrolled: 1-line block ×3, first 2 shown]
	s_waitcnt vmcnt(5)
	v_lshrrev_b32_e32 v51, 16, v20
	s_waitcnt vmcnt(1)
	v_lshrrev_b32_e32 v50, 16, v42
	v_lshrrev_b32_e32 v49, 16, v44
	v_mov_b32_e32 v3, v28
	v_mov_b32_e32 v0, v30
.LBB0_15:
	s_or_b32 exec_lo, exec_lo, s1
	v_add_f16_e32 v69, v4, v6
	v_add_f16_e32 v70, v8, v66
	v_sub_f16_e32 v71, v65, v62
	v_sub_f16_e32 v73, v64, v63
	v_add_f16_e32 v74, v10, v8
	v_fma_f16 v76, -0.5, v69, v66
	v_add_f16_e32 v70, v6, v70
	v_sub_f16_e32 v69, v8, v6
	v_sub_f16_e32 v75, v10, v4
	v_fmac_f16_e32 v66, -0.5, v74
	v_fmamk_f16 v77, v71, 0x3b9c, v76
	v_fmac_f16_e32 v76, 0xbb9c, v71
	v_add_f16_e32 v70, v4, v70
	v_add_f16_e32 v69, v75, v69
	v_pk_add_f16 v74, v7, v1 neg_lo:[0,1] neg_hi:[0,1]
	v_fmac_f16_e32 v77, 0x38b4, v73
	v_fmac_f16_e32 v76, 0xb8b4, v73
	v_add_f16_e32 v79, v10, v70
	v_pk_add_f16 v70, v5, v2 neg_lo:[0,1] neg_hi:[0,1]
	v_sub_f16_e32 v75, v4, v10
	v_fmac_f16_e32 v77, 0x34f2, v69
	v_fmac_f16_e32 v76, 0x34f2, v69
	v_sub_f16_e32 v69, v6, v8
	v_add_f16_e32 v80, v1, v2
	v_pk_add_f16 v81, v5, v7 neg_lo:[0,1] neg_hi:[0,1]
	v_pk_add_f16 v82, v2, v1 neg_lo:[0,1] neg_hi:[0,1]
	v_pk_add_f16 v70, v74, v70
	v_fmamk_f16 v78, v73, 0xbb9c, v66
	v_add_f16_e32 v69, v75, v69
	v_fma_f16 v75, -0.5, v80, v72
	v_lshrrev_b32_e32 v80, 16, v81
	v_bfi_b32 v70, 0xffff, v70, v82
	v_fmac_f16_e32 v66, 0x3b9c, v73
	v_fmac_f16_e32 v78, 0x38b4, v71
	v_add_f16_e32 v74, v5, v72
	v_fmamk_f16 v83, v80, 0x3b9c, v75
	v_pk_mul_f16 v84, 0x38b434f2, v70
	v_fmac_f16_e32 v66, 0xb8b4, v71
	v_fmac_f16_e32 v75, 0xbb9c, v80
	;; [unrolled: 1-line block ×3, first 2 shown]
	v_add_f16_e32 v73, v2, v74
	v_lshrrev_b32_e32 v74, 16, v72
	v_add_f16_sdwa v70, v1, v2 dst_sel:DWORD dst_unused:UNUSED_PAD src0_sel:WORD_1 src1_sel:WORD_1
	v_fmac_f16_e32 v66, 0x34f2, v69
	v_sub_f16_sdwa v69, v75, v84 dst_sel:DWORD dst_unused:UNUSED_PAD src0_sel:DWORD src1_sel:WORD_1
	v_pk_add_f16 v75, v7, v5
	v_add_f16_e32 v71, v1, v73
	v_add_f16_sdwa v73, v84, v83 dst_sel:DWORD dst_unused:UNUSED_PAD src0_sel:WORD_1 src1_sel:DWORD
	v_fma_f16 v70, -0.5, v70, v74
	v_add_f16_e32 v69, v84, v69
	v_pk_fma_f16 v72, v75, 0.5, v72 op_sel_hi:[1,0,1] neg_lo:[1,0,0] neg_hi:[1,0,0]
	v_pk_mul_f16 v75, 0x3b9c, v82 op_sel_hi:[0,1]
	v_add_f16_e32 v80, v7, v71
	v_add_f16_e32 v73, v84, v73
	v_fmamk_f16 v71, v81, 0xbb9c, v70
	v_pk_add_f16 v83, v2, v5 neg_lo:[0,1] neg_hi:[0,1]
	v_pk_add_f16 v84, v1, v7 neg_lo:[0,1] neg_hi:[0,1]
	v_sub_f16_sdwa v85, v5, v2 dst_sel:DWORD dst_unused:UNUSED_PAD src0_sel:WORD_1 src1_sel:WORD_1
	v_sub_f16_sdwa v86, v7, v1 dst_sel:DWORD dst_unused:UNUSED_PAD src0_sel:WORD_1 src1_sel:WORD_1
	v_fmac_f16_e32 v70, 0x3b9c, v81
	v_pk_mul_f16 v81, 0x38b4, v81 op_sel_hi:[0,1]
	v_pk_add_f16 v87, v72, v75 op_sel:[0,1] op_sel_hi:[1,0] neg_lo:[0,1] neg_hi:[0,1]
	v_pk_add_f16 v72, v75, v72 op_sel:[1,0] op_sel_hi:[0,1]
	v_fmac_f16_e32 v71, 0xb8b4, v82
	v_add_f16_e32 v75, v86, v85
	v_fmac_f16_e32 v70, 0x38b4, v82
	v_pk_add_f16 v82, v84, v83
	v_pk_add_f16 v83, v81, v87 op_sel:[1,0] op_sel_hi:[0,1]
	v_pk_add_f16 v72, v72, v81 op_sel:[0,1] op_sel_hi:[1,0] neg_lo:[0,1] neg_hi:[0,1]
	v_fmac_f16_e32 v71, 0x34f2, v75
	v_mul_f16_e32 v81, 0x3a79, v73
	v_fmac_f16_e32 v70, 0x34f2, v75
	v_pk_fma_f16 v75, 0x34f2, v82, v83 op_sel_hi:[0,1,1]
	v_pk_fma_f16 v72, 0x34f2, v82, v72 op_sel_hi:[0,1,1]
	v_add_f16_e32 v88, v9, v14
	v_fmac_f16_e32 v81, 0x38b4, v71
	v_add_f16_e32 v82, v80, v79
	v_mul_f16_e32 v84, 0x34f2, v75
	v_lshrrev_b32_e32 v85, 16, v72
	v_mul_f16_e32 v86, 0x34f2, v72
	v_lshrrev_b32_e32 v87, 16, v75
	v_add_f16_e32 v89, v77, v81
	v_sub_f16_e32 v93, v77, v81
	v_fmac_f16_e32 v84, 0x3b9c, v85
	v_add_f16_e32 v77, v46, v18
	v_fma_f16 v85, v87, 0x3b9c, -v86
	v_fma_f16 v87, -0.5, v88, v47
	v_sub_f16_e32 v88, v59, v56
	v_sub_f16_e32 v92, v79, v80
	;; [unrolled: 1-line block ×3, first 2 shown]
	v_add_f16_e32 v91, v66, v85
	v_sub_f16_e32 v85, v66, v85
	v_fmamk_f16 v81, v88, 0x3b9c, v87
	v_add_f16_e32 v94, v18, v47
	v_fmac_f16_e32 v47, -0.5, v77
	v_sub_f16_e32 v66, v18, v14
	v_sub_f16_e32 v77, v46, v9
	v_fmac_f16_e32 v87, 0xbb9c, v88
	v_fmac_f16_e32 v81, 0x38b4, v79
	v_mul_f16_e32 v83, 0x3a79, v69
	v_fmamk_f16 v95, v79, 0xbb9c, v47
	v_add_f16_e32 v66, v77, v66
	v_fmac_f16_e32 v87, 0xb8b4, v79
	v_add_f16_e32 v77, v45, v11
	v_fmac_f16_e32 v47, 0x3b9c, v79
	v_fma_f16 v83, v70, 0x38b4, -v83
	v_fmac_f16_e32 v81, 0x34f2, v66
	v_fmac_f16_e32 v87, 0x34f2, v66
	v_fma_f16 v79, -0.5, v77, v68
	v_pk_add_f16 v66, v13, v11 neg_lo:[0,1] neg_hi:[0,1]
	v_pk_add_f16 v77, v16, v45 neg_lo:[0,1] neg_hi:[0,1]
	v_add_f16_e32 v90, v78, v84
	v_sub_f16_e32 v84, v78, v84
	v_sub_f16_e32 v78, v14, v18
	;; [unrolled: 1-line block ×3, first 2 shown]
	v_pk_add_f16 v96, v77, v66
	v_pk_add_f16 v66, v16, v13
	v_add_f16_e32 v86, v76, v83
	v_sub_f16_e32 v83, v76, v83
	v_fmac_f16_e32 v95, 0x38b4, v88
	v_add_f16_e32 v76, v80, v78
	v_pk_add_f16 v78, v13, v16 neg_lo:[0,1] neg_hi:[0,1]
	v_fmac_f16_e32 v47, 0xb8b4, v88
	v_pk_add_f16 v99, v11, v45 neg_lo:[0,1] neg_hi:[0,1]
	v_pk_fma_f16 v101, v66, 0.5, v68 op_sel_hi:[1,0,1] neg_lo:[1,0,0] neg_hi:[1,0,0]
	v_lshrrev_b32_e32 v77, 16, v68
	v_add_f16_sdwa v66, v45, v11 dst_sel:DWORD dst_unused:UNUSED_PAD src0_sel:WORD_1 src1_sel:WORD_1
	v_fmac_f16_e32 v95, 0x34f2, v76
	v_lshrrev_b32_e32 v80, 16, v78
	v_fmac_f16_e32 v47, 0x34f2, v76
	v_sub_f16_sdwa v76, v13, v11 dst_sel:DWORD dst_unused:UNUSED_PAD src0_sel:WORD_1 src1_sel:WORD_1
	v_sub_f16_sdwa v88, v16, v45 dst_sel:DWORD dst_unused:UNUSED_PAD src0_sel:WORD_1 src1_sel:WORD_1
	v_pk_add_f16 v98, v11, v13 neg_lo:[0,1] neg_hi:[0,1]
	v_pk_add_f16 v100, v45, v16 neg_lo:[0,1] neg_hi:[0,1]
	v_pk_mul_f16 v102, 0x3b9c, v99 op_sel_hi:[0,1]
	v_fma_f16 v66, -0.5, v66, v77
	v_bfi_b32 v96, 0xffff, v96, v99
	v_fmamk_f16 v97, v80, 0x3b9c, v79
	v_fmac_f16_e32 v79, 0xbb9c, v80
	v_add_f16_e32 v88, v88, v76
	v_pk_add_f16 v80, v100, v98
	v_pk_add_f16 v98, v102, v101 op_sel:[1,0] op_sel_hi:[0,1]
	v_pk_mul_f16 v100, 0x38b4, v78 op_sel_hi:[0,1]
	v_pk_add_f16 v101, v101, v102 op_sel:[0,1] op_sel_hi:[1,0] neg_lo:[0,1] neg_hi:[0,1]
	v_fmamk_f16 v76, v78, 0xbb9c, v66
	v_fmac_f16_e32 v66, 0x3b9c, v78
	v_pk_mul_f16 v96, 0x38b434f2, v96
	v_pk_add_f16 v78, v98, v100 op_sel:[0,1] op_sel_hi:[1,0] neg_lo:[0,1] neg_hi:[0,1]
	v_pk_add_f16 v98, v100, v101 op_sel:[1,0] op_sel_hi:[0,1]
	v_fmac_f16_e32 v76, 0xb8b4, v99
	v_fmac_f16_e32 v66, 0x38b4, v99
	v_add_f16_sdwa v97, v96, v97 dst_sel:DWORD dst_unused:UNUSED_PAD src0_sel:WORD_1 src1_sel:DWORD
	v_sub_f16_sdwa v99, v79, v96 dst_sel:DWORD dst_unused:UNUSED_PAD src0_sel:DWORD src1_sel:WORD_1
	v_add_f16_e32 v100, v13, v68
	v_pk_fma_f16 v78, 0x34f2, v80, v78 op_sel_hi:[0,1,1]
	v_pk_fma_f16 v79, 0x34f2, v80, v98 op_sel_hi:[0,1,1]
	v_add_f16_e32 v80, v96, v97
	v_add_f16_e32 v68, v96, v99
	;; [unrolled: 1-line block ×4, first 2 shown]
	v_fmac_f16_e32 v76, 0x34f2, v88
	v_mul_f16_e32 v100, 0x3a79, v80
	v_mul_f16_e32 v97, 0x34f2, v79
	v_add_f16_e32 v94, v9, v94
	v_add_f16_e32 v96, v45, v96
	v_lshrrev_b32_e32 v98, 16, v78
	v_mul_f16_e32 v99, 0x34f2, v78
	v_lshrrev_b32_e32 v101, 16, v79
	v_add_f16_e32 v94, v46, v94
	v_add_f16_e32 v96, v16, v96
	v_fmac_f16_e32 v100, 0x38b4, v76
	v_fmac_f16_e32 v66, 0x34f2, v88
	;; [unrolled: 1-line block ×3, first 2 shown]
	v_fma_f16 v88, v101, 0x3b9c, -v99
	v_add_f16_e32 v98, v96, v94
	v_sub_f16_e32 v94, v94, v96
	v_add_f16_e32 v96, v81, v100
	v_sub_f16_e32 v99, v81, v100
	v_mul_u32_u24_e32 v81, 10, v26
	v_add_f16_e32 v100, v95, v97
	v_sub_f16_e32 v95, v95, v97
	v_add_f16_e32 v97, v47, v88
	v_sub_f16_e32 v88, v47, v88
	v_lshl_add_u32 v81, v81, 1, 0
	v_pack_b32_f16 v47, v93, v84
	v_pack_b32_f16 v84, v86, v92
	;; [unrolled: 1-line block ×4, first 2 shown]
	v_add_f16_e32 v89, v42, v20
	v_sub_f16_e32 v86, v52, v49
	ds_write2_b32 v81, v84, v47 offset0:2 offset1:3
	v_add_f16_e32 v47, v44, v19
	ds_write2_b32 v81, v82, v90 offset1:1
	v_fma_f16 v82, -0.5, v89, v53
	v_sub_f16_e32 v91, v51, v50
	v_add_f16_e32 v101, v19, v53
	v_fmac_f16_e32 v53, -0.5, v47
	v_mul_f16_e32 v47, 0x3a79, v68
	v_sub_f16_e32 v89, v19, v20
	v_sub_f16_e32 v90, v44, v42
	v_fmamk_f16 v84, v86, 0x3b9c, v82
	v_fmac_f16_e32 v82, 0xbb9c, v86
	v_fmamk_f16 v102, v91, 0xbb9c, v53
	v_fmac_f16_e32 v53, 0x3b9c, v91
	v_fma_f16 v47, v66, 0x38b4, -v47
	v_add_f16_e32 v89, v90, v89
	v_fmac_f16_e32 v84, 0x38b4, v91
	v_sub_f16_e32 v90, v20, v19
	v_sub_f16_e32 v92, v42, v44
	v_fmac_f16_e32 v82, 0xb8b4, v91
	v_fmac_f16_e32 v102, 0x38b4, v86
	v_fmac_f16_e32 v53, 0xb8b4, v86
	v_add_f16_e32 v86, v87, v47
	v_sub_f16_e32 v87, v87, v47
	s_waitcnt vmcnt(0)
	v_add_f16_e32 v47, v32, v40
	v_add_f16_e32 v90, v92, v90
	v_fmac_f16_e32 v84, 0x34f2, v89
	v_fmac_f16_e32 v82, 0x34f2, v89
	v_pk_add_f16 v89, v15, v40 neg_lo:[0,1] neg_hi:[0,1]
	v_pk_add_f16 v91, v21, v32 neg_lo:[0,1] neg_hi:[0,1]
	v_fma_f16 v93, -0.5, v47, v61
	v_mul_i32_i24_e32 v47, 10, v0
	v_fmac_f16_e32 v102, 0x34f2, v90
	v_fmac_f16_e32 v53, 0x34f2, v90
	v_pk_add_f16 v90, v91, v89
	v_pack_b32_f16 v83, v85, v83
	v_pack_b32_f16 v89, v100, v97
	v_pack_b32_f16 v91, v98, v96
	v_lshl_add_u32 v47, v47, 1, 0
	v_pk_add_f16 v92, v15, v21 neg_lo:[0,1] neg_hi:[0,1]
	ds_write_b32 v81, v83 offset:16
	v_pack_b32_f16 v83, v99, v95
	v_pack_b32_f16 v86, v86, v94
	ds_write2_b32 v47, v91, v89 offset1:1
	v_pk_add_f16 v91, v21, v15
	v_pk_add_f16 v95, v40, v15 neg_lo:[0,1] neg_hi:[0,1]
	v_pk_add_f16 v96, v40, v32 neg_lo:[0,1] neg_hi:[0,1]
	;; [unrolled: 1-line block ×3, first 2 shown]
	v_lshrrev_b32_e32 v103, 16, v92
	v_sub_f16_sdwa v89, v15, v40 dst_sel:DWORD dst_unused:UNUSED_PAD src0_sel:WORD_1 src1_sel:WORD_1
	v_sub_f16_sdwa v94, v21, v32 dst_sel:DWORD dst_unused:UNUSED_PAD src0_sel:WORD_1 src1_sel:WORD_1
	v_pk_fma_f16 v98, v91, 0.5, v61 op_sel_hi:[1,0,1] neg_lo:[1,0,0] neg_hi:[1,0,0]
	v_lshrrev_b32_e32 v91, 16, v61
	v_add_f16_sdwa v99, v32, v40 dst_sel:DWORD dst_unused:UNUSED_PAD src0_sel:WORD_1 src1_sel:WORD_1
	v_pk_mul_f16 v100, 0x3b9c, v96 op_sel_hi:[0,1]
	ds_write2_b32 v47, v86, v83 offset0:2 offset1:3
	v_pk_add_f16 v86, v97, v95
	v_bfi_b32 v95, 0xffff, v90, v96
	v_fmamk_f16 v85, v103, 0x3b9c, v93
	v_add_f16_e32 v83, v94, v89
	v_fma_f16 v89, -0.5, v99, v91
	v_pk_add_f16 v94, v100, v98 op_sel:[1,0] op_sel_hi:[0,1]
	v_pk_mul_f16 v97, 0x38b4, v92 op_sel_hi:[0,1]
	v_pk_add_f16 v98, v98, v100 op_sel:[0,1] op_sel_hi:[1,0] neg_lo:[0,1] neg_hi:[0,1]
	v_pk_mul_f16 v95, 0x38b434f2, v95
	v_fmac_f16_e32 v93, 0xbb9c, v103
	v_fmamk_f16 v90, v92, 0xbb9c, v89
	v_fmac_f16_e32 v89, 0x3b9c, v92
	v_pk_add_f16 v92, v94, v97 op_sel:[0,1] op_sel_hi:[1,0] neg_lo:[0,1] neg_hi:[0,1]
	v_pk_add_f16 v94, v97, v98 op_sel:[1,0] op_sel_hi:[0,1]
	v_add_f16_sdwa v85, v95, v85 dst_sel:DWORD dst_unused:UNUSED_PAD src0_sel:WORD_1 src1_sel:DWORD
	v_add_f16_e32 v97, v15, v61
	v_fmac_f16_e32 v90, 0xb8b4, v96
	v_fmac_f16_e32 v89, 0x38b4, v96
	v_sub_f16_sdwa v96, v93, v95 dst_sel:DWORD dst_unused:UNUSED_PAD src0_sel:DWORD src1_sel:WORD_1
	v_pk_fma_f16 v92, 0x34f2, v86, v92 op_sel_hi:[0,1,1]
	v_pk_fma_f16 v93, 0x34f2, v86, v94 op_sel_hi:[0,1,1]
	v_add_f16_e32 v94, v95, v85
	v_add_f16_e32 v85, v20, v101
	v_add_f16_e32 v86, v40, v97
	v_add_f16_e32 v61, v95, v96
	v_fmac_f16_e32 v90, 0x34f2, v83
	v_mul_f16_e32 v97, 0x34f2, v92
	v_add_f16_e32 v85, v42, v85
	v_add_f16_e32 v86, v32, v86
	v_lshrrev_b32_e32 v98, 16, v93
	v_mul_f16_e32 v99, 0x3a79, v94
	v_mul_f16_e32 v95, 0x34f2, v93
	v_lshrrev_b32_e32 v96, 16, v92
	v_add_f16_e32 v85, v44, v85
	v_add_f16_e32 v86, v21, v86
	v_fmac_f16_e32 v89, 0x34f2, v83
	v_fmac_f16_e32 v99, 0x38b4, v90
	v_fma_f16 v83, v98, 0x3b9c, -v97
	v_mul_f16_e32 v97, 0x3a79, v61
	v_fmac_f16_e32 v95, 0x3b9c, v96
	v_add_f16_e32 v96, v86, v85
	v_sub_f16_e32 v85, v85, v86
	v_add_f16_e32 v86, v84, v99
	v_fma_f16 v97, v89, 0x38b4, -v97
	v_sub_f16_e32 v84, v84, v99
	v_add_f16_e32 v98, v102, v95
	v_sub_f16_e32 v95, v102, v95
	v_add_f16_e32 v99, v53, v83
	v_sub_f16_e32 v100, v53, v83
	v_pack_b32_f16 v101, v88, v87
	v_add_f16_e32 v83, v82, v97
	v_sub_f16_e32 v97, v82, v97
	v_pk_add_f16 v82, v43, v39 neg_lo:[0,1] neg_hi:[0,1]
	v_pk_add_f16 v87, v33, v36 neg_lo:[0,1] neg_hi:[0,1]
	v_pack_b32_f16 v96, v96, v86
	v_add_f16_e32 v86, v36, v39
	v_pk_add_f16 v88, v43, v33 neg_lo:[0,1] neg_hi:[0,1]
	v_pack_b32_f16 v98, v98, v99
	v_pk_add_f16 v87, v87, v82
	v_pack_b32_f16 v95, v84, v95
	v_fma_f16 v86, -0.5, v86, v67
	v_lshrrev_b32_e32 v82, 16, v88
	v_sub_f16_sdwa v99, v43, v39 dst_sel:DWORD dst_unused:UNUSED_PAD src0_sel:WORD_1 src1_sel:WORD_1
	v_sub_f16_sdwa v102, v33, v36 dst_sel:DWORD dst_unused:UNUSED_PAD src0_sel:WORD_1 src1_sel:WORD_1
	v_lshrrev_b32_e32 v84, 16, v67
	v_add_f16_sdwa v103, v36, v39 dst_sel:DWORD dst_unused:UNUSED_PAD src0_sel:WORD_1 src1_sel:WORD_1
	v_pack_b32_f16 v104, v83, v85
	v_fmamk_f16 v85, v82, 0x3b9c, v86
	v_fmac_f16_e32 v86, 0xbb9c, v82
	v_add_f16_e32 v99, v102, v99
	v_fma_f16 v82, -0.5, v103, v84
	v_pk_add_f16 v102, v39, v36 neg_lo:[0,1] neg_hi:[0,1]
	v_pk_add_f16 v103, v33, v43
	v_pk_add_f16 v105, v39, v43 neg_lo:[0,1] neg_hi:[0,1]
	v_pk_add_f16 v106, v36, v33 neg_lo:[0,1] neg_hi:[0,1]
	v_fmamk_f16 v83, v88, 0xbb9c, v82
	v_bfi_b32 v87, 0xffff, v87, v102
	v_pk_fma_f16 v103, v103, 0.5, v67 op_sel_hi:[1,0,1] neg_lo:[1,0,0] neg_hi:[1,0,0]
	v_pk_mul_f16 v107, 0x3b9c, v102 op_sel_hi:[0,1]
	v_pk_add_f16 v105, v106, v105
	v_fmac_f16_e32 v82, 0x3b9c, v88
	v_pk_mul_f16 v87, 0x38b434f2, v87
	v_pk_mul_f16 v88, 0x38b4, v88 op_sel_hi:[0,1]
	v_pk_add_f16 v106, v107, v103 op_sel:[1,0] op_sel_hi:[0,1]
	v_pk_add_f16 v103, v103, v107 op_sel:[0,1] op_sel_hi:[1,0] neg_lo:[0,1] neg_hi:[0,1]
	v_mul_i32_i24_e32 v53, 10, v3
	v_fmac_f16_e32 v83, 0xb8b4, v102
	v_add_f16_sdwa v85, v87, v85 dst_sel:DWORD dst_unused:UNUSED_PAD src0_sel:WORD_1 src1_sel:DWORD
	v_sub_f16_sdwa v86, v86, v87 dst_sel:DWORD dst_unused:UNUSED_PAD src0_sel:DWORD src1_sel:WORD_1
	v_fmac_f16_e32 v82, 0x38b4, v102
	v_pk_add_f16 v102, v106, v88 op_sel:[0,1] op_sel_hi:[1,0] neg_lo:[0,1] neg_hi:[0,1]
	v_pk_add_f16 v103, v88, v103 op_sel:[1,0] op_sel_hi:[0,1]
	v_lshl_add_u32 v53, v53, 1, 0
	v_add_f16_e32 v88, v87, v85
	v_add_f16_e32 v85, v87, v86
	v_fmac_f16_e32 v83, 0x34f2, v99
	v_fmac_f16_e32 v82, 0x34f2, v99
	v_pk_fma_f16 v86, 0x34f2, v105, v102 op_sel_hi:[0,1,1]
	v_pk_fma_f16 v87, 0x34f2, v105, v103 op_sel_hi:[0,1,1]
	v_cmp_gt_u32_e64 s0, 36, v26
	v_pack_b32_f16 v97, v100, v97
	ds_write_b32 v47, v101 offset:16
	ds_write2_b32 v53, v96, v98 offset1:1
	ds_write2_b32 v53, v104, v95 offset0:2 offset1:3
	ds_write_b32 v53, v97 offset:16
	s_and_saveexec_b32 s1, s0
	s_cbranch_execz .LBB0_17
; %bb.16:
	v_add_f16_e32 v99, v41, v12
	v_add_f16_e32 v95, v35, v22
	v_sub_f16_e32 v96, v12, v22
	v_sub_f16_e32 v97, v41, v35
	;; [unrolled: 1-line block ×3, first 2 shown]
	v_fma_f16 v99, -0.5, v99, v54
	v_sub_f16_e32 v98, v38, v23
	v_fma_f16 v95, -0.5, v95, v54
	v_sub_f16_e32 v102, v22, v12
	v_sub_f16_e32 v104, v35, v41
	v_add_f16_e32 v96, v97, v96
	v_fmamk_f16 v97, v100, 0x3b9c, v99
	v_fmac_f16_e32 v99, 0xbb9c, v100
	v_add_f16_e32 v54, v12, v54
	v_add_f16_e32 v67, v43, v67
	v_fmamk_f16 v103, v98, 0xbb9c, v95
	v_add_f16_e32 v102, v104, v102
	v_fmac_f16_e32 v97, 0xb8b4, v98
	v_fmac_f16_e32 v99, 0x38b4, v98
	;; [unrolled: 1-line block ×3, first 2 shown]
	v_add_f16_e32 v54, v22, v54
	v_add_f16_e32 v67, v39, v67
	v_lshrrev_b32_e32 v105, 16, v87
	v_fmac_f16_e32 v103, 0xb8b4, v100
	v_mul_f16_e32 v106, 0x34f2, v86
	v_fmac_f16_e32 v97, 0x34f2, v102
	v_fmac_f16_e32 v99, 0x34f2, v102
	v_mul_f16_e32 v98, 0x34f2, v87
	v_lshrrev_b32_e32 v102, 16, v86
	v_fmac_f16_e32 v95, 0x38b4, v100
	v_mul_f16_e32 v100, 0x3a79, v88
	v_add_f16_e32 v54, v35, v54
	v_add_f16_e32 v67, v36, v67
	v_mul_f16_e32 v101, 0x3a79, v85
	v_fma_f16 v104, v105, 0x3b9c, -v106
	v_fmac_f16_e32 v98, 0x3b9c, v102
	v_fmac_f16_e32 v95, 0x34f2, v96
	;; [unrolled: 1-line block ×3, first 2 shown]
	v_add_f16_e32 v54, v41, v54
	v_add_f16_e32 v67, v33, v67
	v_fmac_f16_e32 v103, 0x34f2, v96
	v_fma_f16 v101, v82, 0x38b4, -v101
	v_sub_f16_e32 v96, v97, v104
	v_sub_f16_e32 v102, v99, v98
	;; [unrolled: 1-line block ×3, first 2 shown]
	v_add_f16_e32 v97, v97, v104
	v_add_f16_e32 v98, v99, v98
	;; [unrolled: 1-line block ×4, first 2 shown]
	v_sub_f16_e32 v54, v54, v67
	v_add_f16_e32 v67, v103, v101
	v_sub_f16_e32 v105, v103, v101
	v_add_nc_u32_e32 v100, 0xe10, v81
	v_pack_b32_f16 v97, v98, v97
	v_pack_b32_f16 v95, v99, v95
	v_add_nc_u32_e32 v98, 0xe18, v81
	v_pack_b32_f16 v99, v106, v102
	v_pack_b32_f16 v54, v67, v54
	;; [unrolled: 1-line block ×3, first 2 shown]
	ds_write2_b32 v100, v95, v97 offset1:1
	ds_write2_b32 v98, v54, v99 offset1:1
	ds_write_b32 v81, v67 offset:3616
.LBB0_17:
	s_or_b32 exec_lo, exec_lo, s1
	v_add_f16_e32 v54, v63, v64
	v_add_f16_e32 v67, v65, v60
	;; [unrolled: 1-line block ×3, first 2 shown]
	v_sub_f16_e32 v8, v8, v10
	v_sub_f16_e32 v4, v6, v4
	;; [unrolled: 1-line block ×3, first 2 shown]
	v_fma_f16 v10, -0.5, v54, v60
	v_sub_f16_e32 v54, v62, v63
	v_sub_f16_e32 v65, v64, v65
	v_add_f16_e32 v64, v64, v67
	v_fmac_f16_e32 v60, -0.5, v95
	v_fmamk_f16 v67, v8, 0xbb9c, v10
	v_sub_f16_e32 v96, v63, v62
	v_add_f16_e32 v6, v54, v6
	v_add_f16_e32 v54, v63, v64
	v_add_f16_sdwa v5, v5, v74 dst_sel:DWORD dst_unused:UNUSED_PAD src0_sel:WORD_1 src1_sel:DWORD
	v_fmamk_f16 v63, v4, 0x3b9c, v60
	v_fmac_f16_e32 v60, 0xbb9c, v4
	v_fmac_f16_e32 v10, 0x3b9c, v8
	;; [unrolled: 1-line block ×3, first 2 shown]
	v_add_f16_e32 v54, v62, v54
	v_add_f16_e32 v62, v96, v65
	v_add_f16_sdwa v2, v2, v5 dst_sel:DWORD dst_unused:UNUSED_PAD src0_sel:WORD_1 src1_sel:DWORD
	v_fmac_f16_e32 v63, 0xb8b4, v8
	v_fmac_f16_e32 v60, 0x38b4, v8
	v_fmac_f16_e32 v10, 0x38b4, v4
	v_fmac_f16_e32 v67, 0x34f2, v6
	v_mul_f16_e32 v4, 0x34f2, v62
	v_add_f16_sdwa v1, v1, v2 dst_sel:DWORD dst_unused:UNUSED_PAD src0_sel:WORD_1 src1_sel:DWORD
	v_mul_f16_e32 v2, 0xb8b4, v73
	v_pack_b32_f16 v5, v60, v63
	v_fmac_f16_e32 v10, 0x34f2, v6
	v_pk_mul_f16 v6, 0x34f23b9c, v75
	v_sub_f16_e32 v18, v18, v46
	v_fmac_f16_e32 v2, 0x3a79, v71
	v_pk_add_f16 v4, v4, v5 op_sel_hi:[0,1]
	v_add_f16_sdwa v1, v7, v1 dst_sel:DWORD dst_unused:UNUSED_PAD src0_sel:WORD_1 src1_sel:DWORD
	v_pk_fma_f16 v6, 0x34f2bb9c, v72, v6 op_sel:[0,0,1] op_sel_hi:[1,1,0] neg_lo:[0,0,1] neg_hi:[0,0,1]
	v_mul_f16_e32 v5, 0x3a79, v70
	v_add_f16_e32 v75, v67, v2
	v_bfi_b32 v46, 0xffff, v67, v4
	v_add_f16_e32 v7, v57, v58
	v_bfi_b32 v2, 0xffff, v2, v6
	v_fma_f16 v5, v69, 0xb8b4, -v5
	v_add_f16_e32 v60, v59, v55
	v_sub_f16_e32 v9, v14, v9
	v_fma_f16 v7, -0.5, v7, v55
	v_pk_add_f16 v97, v46, v2 neg_lo:[0,1] neg_hi:[0,1]
	v_add_f16_e32 v46, v56, v59
	v_pk_add_f16 v95, v4, v6
	v_add_f16_e32 v96, v10, v5
	v_sub_f16_e32 v4, v4, v6
	v_sub_f16_e32 v10, v10, v5
	v_fmac_f16_e32 v55, -0.5, v46
	v_sub_f16_e32 v5, v58, v59
	v_sub_f16_e32 v6, v57, v56
	v_add_f16_sdwa v13, v13, v77 dst_sel:DWORD dst_unused:UNUSED_PAD src0_sel:WORD_1 src1_sel:DWORD
	v_add_f16_e32 v60, v58, v60
	v_fmamk_f16 v46, v9, 0x3b9c, v55
	v_fmac_f16_e32 v55, 0xbb9c, v9
	v_fmamk_f16 v62, v18, 0xbb9c, v7
	v_sub_f16_e32 v14, v59, v58
	v_sub_f16_e32 v63, v56, v57
	v_fmac_f16_e32 v7, 0x3b9c, v18
	v_add_f16_e32 v5, v6, v5
	v_add_f16_sdwa v6, v11, v13 dst_sel:DWORD dst_unused:UNUSED_PAD src0_sel:WORD_1 src1_sel:DWORD
	v_fmac_f16_e32 v46, 0xb8b4, v18
	v_fmac_f16_e32 v55, 0x38b4, v18
	v_add_f16_e32 v2, v57, v60
	v_fmac_f16_e32 v62, 0xb8b4, v9
	v_add_f16_e32 v14, v63, v14
	v_fmac_f16_e32 v7, 0x38b4, v9
	v_mul_f16_e32 v5, 0x34f2, v5
	v_add_f16_sdwa v6, v45, v6 dst_sel:DWORD dst_unused:UNUSED_PAD src0_sel:WORD_1 src1_sel:DWORD
	v_mul_f16_e32 v9, 0xb8b4, v80
	v_pack_b32_f16 v11, v55, v46
	v_pk_mul_f16 v13, 0x34f23b9c, v79
	v_add_f16_e32 v2, v56, v2
	v_fmac_f16_e32 v62, 0x34f2, v14
	v_fmac_f16_e32 v7, 0x34f2, v14
	v_mul_f16_e32 v14, 0x3a79, v66
	v_add_f16_sdwa v6, v16, v6 dst_sel:DWORD dst_unused:UNUSED_PAD src0_sel:WORD_1 src1_sel:DWORD
	v_fmac_f16_e32 v9, 0x3a79, v76
	v_pk_add_f16 v5, v5, v11 op_sel_hi:[0,1]
	v_pk_fma_f16 v11, 0x34f2bb9c, v78, v13 op_sel:[0,0,1] op_sel_hi:[1,1,0] neg_lo:[0,0,1] neg_hi:[0,0,1]
	v_add_f16_e32 v16, v50, v51
	v_add_f16_e32 v45, v52, v48
	;; [unrolled: 1-line block ×3, first 2 shown]
	v_fma_f16 v13, v68, 0xb8b4, -v14
	v_add_f16_e32 v14, v6, v2
	v_add_f16_e32 v18, v62, v9
	v_fma_f16 v16, -0.5, v16, v48
	v_sub_f16_e32 v78, v2, v6
	v_bfi_b32 v2, 0xffff, v62, v5
	v_bfi_b32 v6, 0xffff, v9, v11
	v_add_f16_e32 v9, v51, v45
	v_sub_f16_e32 v20, v20, v42
	v_fmac_f16_e32 v48, -0.5, v46
	v_pk_add_f16 v76, v5, v11
	v_add_f16_e32 v77, v7, v13
	v_sub_f16_e32 v19, v19, v44
	v_pk_add_f16 v79, v2, v6 neg_lo:[0,1] neg_hi:[0,1]
	v_add_f16_e32 v2, v50, v9
	v_sub_f16_e32 v11, v5, v11
	v_sub_f16_e32 v80, v7, v13
	v_fmamk_f16 v5, v20, 0x3b9c, v48
	v_sub_f16_e32 v9, v51, v52
	v_sub_f16_e32 v13, v50, v49
	v_fmac_f16_e32 v48, 0xbb9c, v20
	v_fmamk_f16 v44, v19, 0xbb9c, v16
	v_sub_f16_e32 v42, v52, v51
	v_sub_f16_e32 v45, v49, v50
	v_add_f16_sdwa v7, v15, v91 dst_sel:DWORD dst_unused:UNUSED_PAD src0_sel:WORD_1 src1_sel:DWORD
	v_fmac_f16_e32 v5, 0xb8b4, v19
	v_add_f16_e32 v9, v13, v9
	v_fmac_f16_e32 v48, 0x38b4, v19
	v_fmac_f16_e32 v44, 0xb8b4, v20
	v_add_f16_e32 v6, v45, v42
	v_fmac_f16_e32 v16, 0x3b9c, v19
	v_add_f16_sdwa v7, v40, v7 dst_sel:DWORD dst_unused:UNUSED_PAD src0_sel:WORD_1 src1_sel:DWORD
	v_mul_f16_e32 v13, 0xb8b4, v94
	v_mul_f16_e32 v9, 0x34f2, v9
	v_pack_b32_f16 v5, v48, v5
	v_pk_mul_f16 v15, 0x34f23b9c, v93
	v_fmac_f16_e32 v44, 0x34f2, v6
	v_fmac_f16_e32 v16, 0x38b4, v20
	v_add_f16_sdwa v7, v32, v7 dst_sel:DWORD dst_unused:UNUSED_PAD src0_sel:WORD_1 src1_sel:DWORD
	v_fmac_f16_e32 v13, 0x3a79, v90
	v_mul_f16_e32 v19, 0x3a79, v89
	v_pk_add_f16 v5, v9, v5 op_sel_hi:[0,1]
	v_pk_fma_f16 v9, 0x34f2bb9c, v92, v15 op_sel:[0,0,1] op_sel_hi:[1,1,0] neg_lo:[0,0,1] neg_hi:[0,0,1]
	v_add_f16_e32 v2, v49, v2
	v_add_f16_sdwa v7, v21, v7 dst_sel:DWORD dst_unused:UNUSED_PAD src0_sel:WORD_1 src1_sel:DWORD
	v_fmac_f16_e32 v16, 0x34f2, v6
	v_fma_f16 v6, v61, 0xb8b4, -v19
	v_bfi_b32 v19, 0xffff, v44, v5
	v_bfi_b32 v20, 0xffff, v13, v9
	v_add_f16_e32 v15, v7, v2
	v_sub_f16_e32 v92, v2, v7
	v_mad_i32_i24 v2, 0xffffffee, v3, v53
	v_add_f16_e32 v89, v44, v13
	v_pk_add_f16 v19, v19, v20 neg_lo:[0,1] neg_hi:[0,1]
	v_lshl_add_u32 v20, v26, 1, 0
	v_mad_i32_i24 v13, 0xffffffee, v0, v47
	v_add_f16_e32 v8, v1, v54
	v_sub_f16_e32 v1, v54, v1
	v_pk_add_f16 v90, v5, v9
	v_add_f16_e32 v91, v16, v6
	v_sub_f16_e32 v93, v5, v9
	v_sub_f16_e32 v16, v16, v6
	s_waitcnt lgkmcnt(0)
	s_barrier
	buffer_gl0_inv
	ds_read_u16 v64, v20 offset:3000
	ds_read_u16 v7, v2
	ds_read_u16 v67, v20 offset:840
	ds_read_u16 v63, v20 offset:960
	;; [unrolled: 1-line block ×6, first 2 shown]
	ds_read_u16 v9, v20
	ds_read_u16 v6, v20 offset:360
	ds_read_u16 v5, v20 offset:480
	;; [unrolled: 1-line block ×25, first 2 shown]
	ds_read_u16 v13, v13
	ds_read_u16 v46, v20 offset:4200
	v_alignbit_b32 v94, v95, v95, 16
	v_pack_b32_f16 v8, v8, v75
	v_pack_b32_f16 v1, v96, v1
	;; [unrolled: 1-line block ×3, first 2 shown]
	v_alignbit_b32 v10, v76, v76, 16
	v_pack_b32_f16 v14, v14, v18
	v_add_nc_u32_e32 v32, 0xb4, v26
	v_mul_i32_i24_e32 v21, 0xffffffee, v0
	v_mul_i32_i24_e32 v58, 0xffffffee, v3
	s_waitcnt lgkmcnt(0)
	s_barrier
	buffer_gl0_inv
	ds_write2_b32 v81, v8, v94 offset1:1
	ds_write2_b32 v81, v1, v97 offset0:2 offset1:3
	ds_write_b32 v81, v4 offset:16
	ds_write2_b32 v47, v14, v10 offset1:1
	v_pack_b32_f16 v1, v77, v78
	v_pack_b32_f16 v4, v11, v80
	v_alignbit_b32 v8, v90, v90, 16
	v_pack_b32_f16 v10, v15, v89
	v_pack_b32_f16 v11, v91, v92
	;; [unrolled: 1-line block ×3, first 2 shown]
	ds_write2_b32 v47, v1, v79 offset0:2 offset1:3
	ds_write_b32 v47, v4 offset:16
	ds_write2_b32 v53, v10, v8 offset1:1
	ds_write2_b32 v53, v11, v19 offset0:2 offset1:3
	ds_write_b32 v53, v14 offset:16
	s_and_saveexec_b32 s1, s0
	s_cbranch_execz .LBB0_19
; %bb.18:
	v_add_f16_e32 v1, v34, v37
	v_add_f16_e32 v14, v23, v38
	;; [unrolled: 1-line block ×3, first 2 shown]
	v_sub_f16_e32 v8, v12, v41
	v_sub_f16_e32 v10, v22, v35
	;; [unrolled: 1-line block ×3, first 2 shown]
	v_fma_f16 v1, -0.5, v1, v17
	v_sub_f16_e32 v12, v23, v34
	v_fmac_f16_e32 v17, -0.5, v14
	v_sub_f16_e32 v15, v37, v38
	v_sub_f16_e32 v18, v34, v23
	v_fmamk_f16 v16, v8, 0xbb9c, v1
	v_add_f16_e32 v11, v12, v11
	v_add_f16_sdwa v12, v43, v84 dst_sel:DWORD dst_unused:UNUSED_PAD src0_sel:WORD_1 src1_sel:DWORD
	v_fmac_f16_e32 v1, 0x3b9c, v8
	v_fmamk_f16 v14, v10, 0x3b9c, v17
	v_fmac_f16_e32 v17, 0xbb9c, v10
	v_add_f16_e32 v4, v37, v4
	v_fmac_f16_e32 v16, 0xb8b4, v10
	v_fmac_f16_e32 v1, 0x38b4, v10
	v_add_f16_sdwa v10, v39, v12 dst_sel:DWORD dst_unused:UNUSED_PAD src0_sel:WORD_1 src1_sel:DWORD
	v_add_f16_e32 v12, v18, v15
	v_fmac_f16_e32 v14, 0xb8b4, v8
	v_fmac_f16_e32 v17, 0x38b4, v8
	v_add_f16_e32 v4, v34, v4
	v_fmac_f16_e32 v16, 0x34f2, v11
	v_fmac_f16_e32 v1, 0x34f2, v11
	v_add_f16_sdwa v8, v36, v10 dst_sel:DWORD dst_unused:UNUSED_PAD src0_sel:WORD_1 src1_sel:DWORD
	v_mul_f16_e32 v10, 0x34f2, v12
	v_mul_f16_e32 v11, 0xb8b4, v88
	v_pack_b32_f16 v12, v17, v14
	v_pk_mul_f16 v14, 0x34f23b9c, v87
	v_mul_f16_e32 v15, 0x3a79, v82
	v_add_f16_e32 v4, v23, v4
	v_add_f16_sdwa v8, v33, v8 dst_sel:DWORD dst_unused:UNUSED_PAD src0_sel:WORD_1 src1_sel:DWORD
	v_fmac_f16_e32 v11, 0x3a79, v83
	v_pk_add_f16 v10, v10, v12 op_sel_hi:[0,1]
	v_pk_fma_f16 v12, 0x34f2bb9c, v86, v14 op_sel:[0,0,1] op_sel_hi:[1,1,0] neg_lo:[0,0,1] neg_hi:[0,0,1]
	v_fma_f16 v15, v85, 0xb8b4, -v15
	v_add_f16_e32 v14, v8, v4
	v_add_f16_e32 v17, v16, v11
	v_bfi_b32 v16, 0xffff, v16, v10
	v_bfi_b32 v11, 0xffff, v11, v12
	v_pk_add_f16 v18, v10, v12
	v_mul_u32_u24_e32 v22, 10, v32
	v_add_f16_e32 v19, v1, v15
	v_sub_f16_e32 v4, v4, v8
	v_sub_f16_e32 v10, v10, v12
	;; [unrolled: 1-line block ×3, first 2 shown]
	v_pk_add_f16 v8, v16, v11 neg_lo:[0,1] neg_hi:[0,1]
	v_lshl_add_u32 v11, v22, 1, 0
	v_alignbit_b32 v12, v18, v18, 16
	v_pack_b32_f16 v14, v14, v17
	v_pack_b32_f16 v4, v19, v4
	;; [unrolled: 1-line block ×3, first 2 shown]
	ds_write2_b32 v11, v14, v12 offset1:1
	ds_write2_b32 v11, v4, v8 offset0:2 offset1:3
	ds_write_b32 v11, v1 offset:16
.LBB0_19:
	s_or_b32 exec_lo, exec_lo, s1
	v_and_b32_e32 v1, 0xff, v26
	v_and_b32_e32 v4, 0xff, v0
	v_mov_b32_e32 v22, 5
	s_waitcnt lgkmcnt(0)
	s_barrier
	v_mul_lo_u16 v1, 0xcd, v1
	buffer_gl0_inv
	v_add_nc_u32_e32 v34, 0xf0, v26
	v_mov_b32_e32 v16, 0xcccd
	v_add_nc_u32_e32 v33, 0x12c, v26
	v_lshrrev_b16 v8, 11, v1
	v_add_nc_u32_e32 v21, v47, v21
	v_mul_u32_u24_sdwa v18, v34, v16 dst_sel:DWORD dst_unused:UNUSED_PAD src0_sel:WORD_0 src1_sel:DWORD
	v_mul_u32_u24_sdwa v19, v33, v16 dst_sel:DWORD dst_unused:UNUSED_PAD src0_sel:WORD_0 src1_sel:DWORD
	v_mul_lo_u16 v1, v8, 10
	v_lshrrev_b32_e32 v16, 19, v18
	v_lshrrev_b32_e32 v18, 19, v19
	v_sub_nc_u16 v11, v26, v1
	v_mul_lo_u16 v1, 0xcd, v4
	v_mul_lo_u16 v19, v16, 10
	;; [unrolled: 1-line block ×3, first 2 shown]
	v_mul_u32_u24_sdwa v4, v11, v22 dst_sel:DWORD dst_unused:UNUSED_PAD src0_sel:BYTE_0 src1_sel:DWORD
	v_lshrrev_b16 v10, 11, v1
	v_and_b32_e32 v1, 0xff, v3
	v_sub_nc_u16 v19, v34, v19
	v_lshlrev_b32_e32 v35, 2, v4
	v_mul_lo_u16 v4, v10, 10
	v_mul_u32_u24_sdwa v113, v19, v22 dst_sel:DWORD dst_unused:UNUSED_PAD src0_sel:WORD_0 src1_sel:DWORD
	global_load_dwordx4 v[76:79], v35, s[8:9]
	v_sub_nc_u16 v15, v0, v4
	v_mul_lo_u16 v4, 0xcd, v1
	v_mul_lo_u16 v1, 0x89, v1
	v_mul_u32_u24_sdwa v14, v15, v22 dst_sel:DWORD dst_unused:UNUSED_PAD src0_sel:BYTE_0 src1_sel:DWORD
	v_lshrrev_b16 v12, 11, v4
	v_lshrrev_b16 v1, 13, v1
	v_lshlrev_b32_e32 v37, 2, v14
	v_mul_lo_u16 v4, v12, 10
	v_mul_lo_u16 v1, v1, 60
	global_load_dwordx4 v[80:83], v37, s[8:9]
	v_sub_nc_u16 v14, v3, v4
	v_sub_nc_u16 v1, v3, v1
	v_mul_u32_u24_sdwa v4, v14, v22 dst_sel:DWORD dst_unused:UNUSED_PAD src0_sel:BYTE_0 src1_sel:DWORD
	v_and_b32_e32 v1, 0xff, v1
	v_lshlrev_b32_e32 v38, 2, v4
	v_and_b32_e32 v4, 0xff, v32
	global_load_dwordx4 v[84:87], v38, s[8:9]
	v_mul_lo_u16 v17, 0xcd, v4
	ds_read_u16 v39, v20 offset:3000
	ds_read_u16 v41, v20 offset:720
	ds_read_u16 v43, v20 offset:840
	ds_read_u16 v88, v20 offset:960
	ds_read_u16 v89, v20 offset:1080
	ds_read_u16 v90, v20 offset:2160
	ds_read_u16 v91, v20 offset:2280
	ds_read_u16 v92, v20 offset:2400
	ds_read_u16 v93, v20 offset:2520
	ds_read_u16 v94, v20 offset:2640
	ds_read_u16 v95, v20 offset:1560
	ds_read_u16 v96, v20 offset:1680
	ds_read_u16 v97, v20 offset:1800
	ds_read_u16 v98, v20 offset:1920
	ds_read_u16 v99, v20 offset:2040
	ds_read_u16 v100, v20 offset:1440
	ds_read_u16 v101, v20 offset:1320
	ds_read_u16 v102, v20 offset:2880
	ds_read_u16 v103, v20 offset:2760
	ds_read_u16 v104, v20 offset:3120
	ds_read_u16 v105, v20 offset:3240
	ds_read_u16 v106, v20 offset:3360
	ds_read_u16 v107, v20 offset:3480
	v_lshrrev_b16 v17, 11, v17
	ds_read_u16 v108, v20 offset:3840
	ds_read_u16 v109, v20 offset:3960
	;; [unrolled: 1-line block ×3, first 2 shown]
	s_clause 0x1
	global_load_dword v112, v35, s[8:9] offset:16
	global_load_dword v117, v37, s[8:9] offset:16
	v_lshlrev_b32_e32 v37, 2, v113
	v_mul_lo_u16 v23, v17, 10
	global_load_dword v113, v38, s[8:9] offset:16
	v_mul_lo_u16 v4, 0x89, v4
	v_sub_nc_u16 v23, v32, v23
	v_lshrrev_b16 v4, 13, v4
	v_mul_u32_u24_sdwa v111, v23, v22 dst_sel:DWORD dst_unused:UNUSED_PAD src0_sel:BYTE_0 src1_sel:DWORD
	v_mul_lo_u16 v4, v4, 60
	v_lshlrev_b32_e32 v111, 2, v111
	v_sub_nc_u16 v4, v32, v4
	v_and_b32_e32 v4, 0xff, v4
	s_waitcnt vmcnt(5) lgkmcnt(24)
	v_mul_f16_sdwa v35, v41, v76 dst_sel:DWORD dst_unused:UNUSED_PAD src0_sel:DWORD src1_sel:WORD_1
	v_mul_f16_sdwa v75, v73, v76 dst_sel:DWORD dst_unused:UNUSED_PAD src0_sel:DWORD src1_sel:WORD_1
	s_waitcnt lgkmcnt(10)
	v_mul_f16_sdwa v114, v100, v77 dst_sel:DWORD dst_unused:UNUSED_PAD src0_sel:DWORD src1_sel:WORD_1
	v_mul_f16_sdwa v115, v74, v77 dst_sel:DWORD dst_unused:UNUSED_PAD src0_sel:DWORD src1_sel:WORD_1
	;; [unrolled: 1-line block ×3, first 2 shown]
	v_fma_f16 v73, v73, v76, -v35
	v_fmac_f16_e32 v75, v41, v76
	v_mul_f16_sdwa v35, v90, v78 dst_sel:DWORD dst_unused:UNUSED_PAD src0_sel:DWORD src1_sel:WORD_1
	v_fma_f16 v74, v74, v77, -v114
	v_mul_f16_sdwa v114, v71, v78 dst_sel:DWORD dst_unused:UNUSED_PAD src0_sel:DWORD src1_sel:WORD_1
	s_waitcnt lgkmcnt(8)
	v_mul_f16_sdwa v41, v102, v79 dst_sel:DWORD dst_unused:UNUSED_PAD src0_sel:DWORD src1_sel:WORD_1
	v_fmac_f16_e32 v115, v100, v77
	v_fma_f16 v100, v71, v78, -v35
	v_fmac_f16_e32 v116, v102, v79
	v_fmac_f16_e32 v114, v90, v78
	v_fma_f16 v72, v72, v79, -v41
	global_load_dwordx4 v[76:79], v111, s[8:9]
	s_waitcnt vmcnt(5)
	v_mul_f16_sdwa v35, v43, v80 dst_sel:DWORD dst_unused:UNUSED_PAD src0_sel:DWORD src1_sel:WORD_1
	v_mul_f16_sdwa v41, v95, v81 dst_sel:DWORD dst_unused:UNUSED_PAD src0_sel:DWORD src1_sel:WORD_1
	v_mul_f16_sdwa v90, v70, v81 dst_sel:DWORD dst_unused:UNUSED_PAD src0_sel:DWORD src1_sel:WORD_1
	v_mul_f16_sdwa v71, v67, v80 dst_sel:DWORD dst_unused:UNUSED_PAD src0_sel:DWORD src1_sel:WORD_1
	v_mul_f16_sdwa v102, v69, v82 dst_sel:DWORD dst_unused:UNUSED_PAD src0_sel:DWORD src1_sel:WORD_1
	v_fma_f16 v67, v67, v80, -v35
	v_mul_f16_sdwa v35, v91, v82 dst_sel:DWORD dst_unused:UNUSED_PAD src0_sel:DWORD src1_sel:WORD_1
	v_fma_f16 v70, v70, v81, -v41
	v_fmac_f16_e32 v90, v95, v81
	v_mul_f16_sdwa v41, v39, v83 dst_sel:DWORD dst_unused:UNUSED_PAD src0_sel:DWORD src1_sel:WORD_1
	v_mul_f16_sdwa v95, v64, v83 dst_sel:DWORD dst_unused:UNUSED_PAD src0_sel:DWORD src1_sel:WORD_1
	v_fmac_f16_e32 v71, v43, v80
	v_fma_f16 v69, v69, v82, -v35
	v_fmac_f16_e32 v102, v91, v82
	v_fma_f16 v91, v64, v83, -v41
	v_fmac_f16_e32 v95, v39, v83
	global_load_dwordx4 v[80:83], v37, s[8:9]
	s_waitcnt vmcnt(5)
	v_mul_f16_sdwa v38, v88, v84 dst_sel:DWORD dst_unused:UNUSED_PAD src0_sel:DWORD src1_sel:WORD_1
	v_mul_f16_sdwa v64, v63, v84 dst_sel:DWORD dst_unused:UNUSED_PAD src0_sel:DWORD src1_sel:WORD_1
	v_sub_nc_u16 v35, v33, v110
	v_mul_f16_sdwa v39, v96, v85 dst_sel:DWORD dst_unused:UNUSED_PAD src0_sel:DWORD src1_sel:WORD_1
	v_mul_f16_sdwa v110, v68, v85 dst_sel:DWORD dst_unused:UNUSED_PAD src0_sel:DWORD src1_sel:WORD_1
	v_fma_f16 v63, v63, v84, -v38
	v_fmac_f16_e32 v64, v88, v84
	v_mul_f16_sdwa v38, v92, v86 dst_sel:DWORD dst_unused:UNUSED_PAD src0_sel:DWORD src1_sel:WORD_1
	v_mul_f16_sdwa v88, v66, v86 dst_sel:DWORD dst_unused:UNUSED_PAD src0_sel:DWORD src1_sel:WORD_1
	v_mul_u32_u24_sdwa v22, v35, v22 dst_sel:DWORD dst_unused:UNUSED_PAD src0_sel:WORD_0 src1_sel:DWORD
	v_fma_f16 v68, v68, v85, -v39
	v_fmac_f16_e32 v110, v96, v85
	v_fma_f16 v118, v66, v86, -v38
	s_waitcnt lgkmcnt(6)
	v_mul_f16_sdwa v38, v104, v87 dst_sel:DWORD dst_unused:UNUSED_PAD src0_sel:DWORD src1_sel:WORD_1
	v_fmac_f16_e32 v88, v92, v86
	v_mul_f16_sdwa v92, v65, v87 dst_sel:DWORD dst_unused:UNUSED_PAD src0_sel:DWORD src1_sel:WORD_1
	v_lshlrev_b32_e32 v22, 2, v22
	ds_read_u16 v96, v20 offset:3600
	v_fma_f16 v119, v65, v87, -v38
	v_fmac_f16_e32 v92, v104, v87
	s_clause 0x3
	global_load_dwordx4 v[84:87], v22, s[8:9]
	global_load_dword v104, v111, s[8:9] offset:16
	global_load_dword v111, v37, s[8:9] offset:16
	;; [unrolled: 1-line block ×3, first 2 shown]
	ds_read_u16 v37, v20 offset:1200
	v_add_nc_u32_e32 v22, v53, v58
	s_waitcnt vmcnt(5)
	v_mul_f16_sdwa v38, v89, v76 dst_sel:DWORD dst_unused:UNUSED_PAD src0_sel:DWORD src1_sel:WORD_1
	v_mul_f16_sdwa v66, v59, v76 dst_sel:DWORD dst_unused:UNUSED_PAD src0_sel:DWORD src1_sel:WORD_1
	;; [unrolled: 1-line block ×4, first 2 shown]
	v_fma_f16 v65, v59, v76, -v38
	v_fmac_f16_e32 v66, v89, v76
	v_mul_f16_sdwa v38, v93, v78 dst_sel:DWORD dst_unused:UNUSED_PAD src0_sel:DWORD src1_sel:WORD_1
	v_mul_f16_sdwa v76, v60, v78 dst_sel:DWORD dst_unused:UNUSED_PAD src0_sel:DWORD src1_sel:WORD_1
	v_fma_f16 v62, v62, v77, -v39
	v_fmac_f16_e32 v121, v97, v77
	s_waitcnt lgkmcnt(7)
	v_mul_f16_sdwa v39, v105, v79 dst_sel:DWORD dst_unused:UNUSED_PAD src0_sel:DWORD src1_sel:WORD_1
	v_fma_f16 v77, v60, v78, -v38
	v_fmac_f16_e32 v76, v93, v78
	ds_read_u16 v78, v20 offset:3720
	v_mul_f16_sdwa v89, v61, v79 dst_sel:DWORD dst_unused:UNUSED_PAD src0_sel:DWORD src1_sel:WORD_1
	v_fma_f16 v93, v61, v79, -v39
	s_waitcnt vmcnt(4) lgkmcnt(1)
	v_mul_f16_sdwa v38, v37, v80 dst_sel:DWORD dst_unused:UNUSED_PAD src0_sel:DWORD src1_sel:WORD_1
	v_mul_f16_sdwa v58, v56, v80 dst_sel:DWORD dst_unused:UNUSED_PAD src0_sel:DWORD src1_sel:WORD_1
	;; [unrolled: 1-line block ×3, first 2 shown]
	v_fmac_f16_e32 v89, v105, v79
	ds_read_u16 v79, v20 offset:4080
	ds_read_u16 v97, v20 offset:4200
	v_mul_f16_sdwa v60, v57, v81 dst_sel:DWORD dst_unused:UNUSED_PAD src0_sel:DWORD src1_sel:WORD_1
	v_fma_f16 v53, v56, v80, -v38
	v_mul_f16_sdwa v38, v94, v82 dst_sel:DWORD dst_unused:UNUSED_PAD src0_sel:DWORD src1_sel:WORD_1
	v_fmac_f16_e32 v58, v37, v80
	v_mul_f16_sdwa v59, v55, v82 dst_sel:DWORD dst_unused:UNUSED_PAD src0_sel:DWORD src1_sel:WORD_1
	v_mul_f16_sdwa v37, v106, v83 dst_sel:DWORD dst_unused:UNUSED_PAD src0_sel:DWORD src1_sel:WORD_1
	v_fma_f16 v57, v57, v81, -v39
	v_fmac_f16_e32 v60, v98, v81
	v_mul_f16_sdwa v56, v54, v83 dst_sel:DWORD dst_unused:UNUSED_PAD src0_sel:DWORD src1_sel:WORD_1
	v_fma_f16 v55, v55, v82, -v38
	v_fmac_f16_e32 v59, v94, v82
	ds_read_u16 v80, v20
	ds_read_u16 v61, v20 offset:360
	v_fma_f16 v54, v54, v83, -v37
	ds_read_u16 v47, v20 offset:480
	s_waitcnt vmcnt(3)
	v_mul_f16_sdwa v38, v101, v84 dst_sel:DWORD dst_unused:UNUSED_PAD src0_sel:DWORD src1_sel:WORD_1
	v_mul_f16_sdwa v37, v52, v84 dst_sel:DWORD dst_unused:UNUSED_PAD src0_sel:DWORD src1_sel:WORD_1
	ds_read_u16 v81, v22
	ds_read_u16 v82, v21
	v_fmac_f16_e32 v56, v106, v83
	v_mul_f16_sdwa v39, v99, v85 dst_sel:DWORD dst_unused:UNUSED_PAD src0_sel:DWORD src1_sel:WORD_1
	v_fma_f16 v38, v52, v84, -v38
	v_mul_f16_sdwa v52, v50, v85 dst_sel:DWORD dst_unused:UNUSED_PAD src0_sel:DWORD src1_sel:WORD_1
	v_fmac_f16_e32 v37, v101, v84
	v_mul_f16_sdwa v41, v103, v86 dst_sel:DWORD dst_unused:UNUSED_PAD src0_sel:DWORD src1_sel:WORD_1
	v_mul_f16_sdwa v83, v107, v87 dst_sel:DWORD dst_unused:UNUSED_PAD src0_sel:DWORD src1_sel:WORD_1
	s_waitcnt lgkmcnt(7)
	v_mul_f16_sdwa v84, v78, v117 dst_sel:DWORD dst_unused:UNUSED_PAD src0_sel:DWORD src1_sel:WORD_1
	v_fma_f16 v50, v50, v85, -v39
	v_mul_f16_sdwa v43, v51, v86 dst_sel:DWORD dst_unused:UNUSED_PAD src0_sel:DWORD src1_sel:WORD_1
	v_fmac_f16_e32 v52, v99, v85
	v_fma_f16 v41, v51, v86, -v41
	v_mul_f16_sdwa v39, v49, v87 dst_sel:DWORD dst_unused:UNUSED_PAD src0_sel:DWORD src1_sel:WORD_1
	v_mul_f16_sdwa v51, v96, v112 dst_sel:DWORD dst_unused:UNUSED_PAD src0_sel:DWORD src1_sel:WORD_1
	v_fma_f16 v49, v49, v87, -v83
	v_mul_f16_sdwa v83, v48, v112 dst_sel:DWORD dst_unused:UNUSED_PAD src0_sel:DWORD src1_sel:WORD_1
	v_mul_f16_sdwa v85, v44, v117 dst_sel:DWORD dst_unused:UNUSED_PAD src0_sel:DWORD src1_sel:WORD_1
	v_fma_f16 v84, v44, v117, -v84
	s_waitcnt vmcnt(0)
	v_mul_f16_sdwa v44, v46, v120 dst_sel:DWORD dst_unused:UNUSED_PAD src0_sel:DWORD src1_sel:WORD_1
	v_fmac_f16_e32 v43, v103, v86
	v_fmac_f16_e32 v39, v107, v87
	v_mul_f16_sdwa v86, v108, v113 dst_sel:DWORD dst_unused:UNUSED_PAD src0_sel:DWORD src1_sel:WORD_1
	v_mul_f16_sdwa v87, v40, v113 dst_sel:DWORD dst_unused:UNUSED_PAD src0_sel:DWORD src1_sel:WORD_1
	;; [unrolled: 1-line block ×3, first 2 shown]
	v_fma_f16 v51, v48, v112, -v51
	v_mul_f16_sdwa v98, v42, v104 dst_sel:DWORD dst_unused:UNUSED_PAD src0_sel:DWORD src1_sel:WORD_1
	v_fmac_f16_e32 v83, v96, v112
	s_waitcnt lgkmcnt(6)
	v_mul_f16_sdwa v96, v79, v111 dst_sel:DWORD dst_unused:UNUSED_PAD src0_sel:DWORD src1_sel:WORD_1
	v_mul_f16_sdwa v48, v45, v111 dst_sel:DWORD dst_unused:UNUSED_PAD src0_sel:DWORD src1_sel:WORD_1
	s_waitcnt lgkmcnt(5)
	v_mul_f16_sdwa v99, v97, v120 dst_sel:DWORD dst_unused:UNUSED_PAD src0_sel:DWORD src1_sel:WORD_1
	v_fmac_f16_e32 v44, v97, v120
	v_add_f16_e32 v97, v73, v100
	v_add_f16_e32 v103, v75, v114
	v_fmac_f16_e32 v85, v78, v117
	v_fma_f16 v78, v40, v113, -v86
	v_fmac_f16_e32 v87, v108, v113
	v_fma_f16 v42, v42, v104, -v94
	;; [unrolled: 2-line block ×4, first 2 shown]
	v_add_f16_e32 v46, v9, v74
	v_add_f16_e32 v79, v74, v72
	;; [unrolled: 1-line block ×4, first 2 shown]
	v_sub_f16_e32 v101, v114, v83
	v_add_f16_e32 v104, v114, v83
	v_sub_f16_e32 v100, v100, v51
	v_add_f16_e32 v105, v13, v70
	v_add_f16_e32 v106, v70, v91
	v_sub_f16_e32 v107, v90, v95
	s_waitcnt lgkmcnt(0)
	v_add_f16_e32 v108, v82, v90
	v_add_f16_e32 v90, v90, v95
	;; [unrolled: 1-line block ×7, first 2 shown]
	v_sub_f16_e32 v86, v115, v116
	v_add_f16_e32 v94, v80, v115
	v_sub_f16_e32 v74, v74, v72
	v_sub_f16_e32 v70, v70, v91
	v_add_f16_e32 v46, v46, v72
	v_add_f16_e32 v72, v69, v84
	v_fmac_f16_e32 v9, -0.5, v79
	v_sub_f16_e32 v79, v102, v85
	v_add_f16_e32 v111, v71, v102
	v_add_f16_e32 v102, v102, v85
	v_sub_f16_e32 v69, v69, v84
	v_fmac_f16_e32 v80, -0.5, v96
	v_add_f16_e32 v96, v7, v68
	v_fmac_f16_e32 v73, -0.5, v99
	v_sub_f16_e32 v99, v110, v92
	v_add_f16_e32 v110, v110, v92
	v_fmac_f16_e32 v75, -0.5, v104
	v_add_f16_e32 v104, v63, v118
	v_add_f16_e32 v91, v105, v91
	;; [unrolled: 1-line block ×3, first 2 shown]
	v_fmac_f16_e32 v13, -0.5, v106
	v_sub_f16_e32 v106, v88, v87
	v_add_f16_e32 v95, v108, v95
	v_add_f16_e32 v108, v64, v88
	;; [unrolled: 1-line block ×3, first 2 shown]
	v_fmac_f16_e32 v82, -0.5, v90
	v_add_f16_e32 v90, v6, v62
	v_add_f16_e32 v84, v109, v84
	;; [unrolled: 1-line block ×5, first 2 shown]
	v_fmac_f16_e32 v7, -0.5, v97
	v_sub_f16_e32 v97, v76, v98
	v_add_f16_e32 v92, v103, v92
	v_add_f16_e32 v103, v66, v76
	;; [unrolled: 1-line block ×4, first 2 shown]
	v_sub_f16_e32 v68, v68, v119
	v_sub_f16_e32 v112, v118, v78
	v_fmac_f16_e32 v67, -0.5, v72
	v_sub_f16_e32 v72, v121, v89
	v_add_f16_e32 v85, v111, v85
	v_add_f16_e32 v111, v61, v121
	v_sub_f16_e32 v62, v62, v93
	v_fmac_f16_e32 v71, -0.5, v102
	v_add_f16_e32 v102, v65, v77
	v_add_f16_e32 v96, v96, v119
	v_sub_f16_e32 v77, v77, v42
	v_fmac_f16_e32 v81, -0.5, v110
	v_add_f16_e32 v78, v104, v78
	v_fmac_f16_e32 v63, -0.5, v105
	v_add_f16_e32 v87, v108, v87
	;; [unrolled: 2-line block ×3, first 2 shown]
	v_fmac_f16_e32 v6, -0.5, v109
	v_fmac_f16_e32 v61, -0.5, v113
	;; [unrolled: 1-line block ×4, first 2 shown]
	v_fmamk_f16 v76, v86, 0x3aee, v9
	v_fmac_f16_e32 v9, 0xbaee, v86
	v_fmamk_f16 v86, v74, 0xbaee, v80
	v_fmac_f16_e32 v80, 0x3aee, v74
	v_fmamk_f16 v74, v101, 0x3aee, v73
	v_fmamk_f16 v93, v100, 0xbaee, v75
	v_add_f16_e32 v42, v102, v42
	v_add_f16_e32 v90, v103, v98
	v_fmac_f16_e32 v73, 0xbaee, v101
	v_fmac_f16_e32 v75, 0x3aee, v100
	v_add_f16_e32 v98, v46, v51
	v_add_f16_e32 v100, v94, v83
	v_sub_f16_e32 v46, v46, v51
	v_sub_f16_e32 v51, v94, v83
	v_fmamk_f16 v94, v70, 0xbaee, v82
	v_fmac_f16_e32 v82, 0x3aee, v70
	v_fmamk_f16 v70, v79, 0x3aee, v67
	v_fmac_f16_e32 v67, 0xbaee, v79
	;; [unrolled: 2-line block ×3, first 2 shown]
	v_add_f16_e32 v101, v95, v85
	v_sub_f16_e32 v85, v95, v85
	v_fmamk_f16 v95, v68, 0xbaee, v81
	v_fmac_f16_e32 v81, 0x3aee, v68
	v_fmamk_f16 v68, v106, 0x3aee, v63
	v_add_f16_e32 v102, v96, v78
	v_add_f16_e32 v103, v92, v87
	v_sub_f16_e32 v78, v96, v78
	v_sub_f16_e32 v87, v92, v87
	v_fmamk_f16 v92, v72, 0x3aee, v6
	v_fmac_f16_e32 v6, 0xbaee, v72
	v_fmamk_f16 v72, v62, 0xbaee, v61
	v_fmac_f16_e32 v61, 0x3aee, v62
	;; [unrolled: 2-line block ×4, first 2 shown]
	v_mul_f16_e32 v77, 0x3aee, v93
	v_mul_f16_e32 v104, 0xbaee, v74
	v_fmamk_f16 v83, v107, 0x3aee, v13
	v_fmac_f16_e32 v13, 0xbaee, v107
	v_add_f16_e32 v69, v91, v84
	v_sub_f16_e32 v84, v91, v84
	v_fmamk_f16 v91, v99, 0x3aee, v7
	v_fmac_f16_e32 v7, 0xbaee, v99
	v_fmamk_f16 v99, v112, 0xbaee, v64
	v_fmac_f16_e32 v64, 0x3aee, v112
	v_mul_f16_e32 v107, -0.5, v67
	v_mul_f16_e32 v109, -0.5, v71
	v_mul_f16_e32 v112, 0xbaee, v68
	v_fmac_f16_e32 v77, 0.5, v74
	v_mul_f16_e32 v74, -0.5, v65
	v_fmac_f16_e32 v104, 0.5, v93
	v_add_f16_e32 v89, v111, v89
	v_fmac_f16_e32 v63, 0xbaee, v106
	v_mul_f16_e32 v105, -0.5, v75
	v_mul_f16_e32 v106, 0x3aee, v79
	v_mul_f16_e32 v110, 0x3aee, v99
	v_fmac_f16_e32 v107, 0x3aee, v71
	v_fmac_f16_e32 v109, 0xbaee, v67
	v_fmac_f16_e32 v112, 0.5, v99
	v_add_f16_e32 v67, v86, v104
	v_sub_f16_e32 v71, v86, v104
	v_mul_f16_e32 v99, 0xbaee, v62
	v_mul_f16_e32 v104, -0.5, v66
	v_fmac_f16_e32 v74, 0x3aee, v66
	v_mul_f16_e32 v97, -0.5, v73
	v_mul_f16_e32 v114, 0x3aee, v96
	v_fmac_f16_e32 v105, 0xbaee, v73
	v_fmac_f16_e32 v106, 0.5, v70
	v_fmac_f16_e32 v99, 0.5, v96
	v_fmac_f16_e32 v104, 0xbaee, v65
	v_add_f16_e32 v66, v6, v74
	v_add_f16_e32 v96, v89, v90
	v_sub_f16_e32 v6, v6, v74
	v_sub_f16_e32 v74, v89, v90
	v_add_f16_e32 v89, v5, v57
	v_fmac_f16_e32 v97, 0x3aee, v75
	v_fmac_f16_e32 v110, 0.5, v68
	v_add_f16_e32 v68, v80, v105
	v_sub_f16_e32 v73, v80, v105
	v_add_f16_e32 v75, v83, v106
	v_sub_f16_e32 v80, v83, v106
	v_fmac_f16_e32 v114, 0.5, v62
	v_add_f16_e32 v62, v88, v42
	v_add_f16_e32 v106, v61, v104
	v_sub_f16_e32 v42, v88, v42
	v_add_f16_e32 v88, v57, v54
	v_sub_f16_e32 v61, v61, v104
	v_add_f16_e32 v90, v60, v56
	v_add_f16_e32 v89, v89, v54
	;; [unrolled: 1-line block ×3, first 2 shown]
	v_sub_f16_e32 v54, v57, v54
	v_add_f16_e32 v57, v59, v48
	v_fmac_f16_e32 v5, -0.5, v88
	v_sub_f16_e32 v88, v60, v56
	v_add_f16_e32 v60, v47, v60
	v_fmac_f16_e32 v47, -0.5, v90
	v_add_f16_e32 v90, v53, v55
	v_fmac_f16_e32 v53, -0.5, v104
	v_sub_f16_e32 v104, v59, v48
	v_add_f16_e32 v59, v58, v59
	v_fmac_f16_e32 v58, -0.5, v57
	v_sub_f16_e32 v55, v55, v45
	v_add_f16_e32 v105, v72, v99
	v_sub_f16_e32 v72, v72, v99
	v_fmamk_f16 v99, v88, 0x3aee, v5
	v_fmac_f16_e32 v5, 0xbaee, v88
	v_add_f16_e32 v56, v60, v56
	v_fmamk_f16 v60, v104, 0x3aee, v53
	v_fmamk_f16 v88, v55, 0xbaee, v58
	v_fmac_f16_e32 v53, 0xbaee, v104
	v_fmac_f16_e32 v58, 0x3aee, v55
	v_add_f16_e32 v45, v90, v45
	v_add_f16_e32 v48, v59, v48
	v_mul_f16_e32 v59, 0xbaee, v60
	v_mul_f16_e32 v55, -0.5, v53
	v_mul_f16_e32 v90, -0.5, v58
	v_mul_f16_e32 v113, -0.5, v64
	v_fmamk_f16 v57, v54, 0xbaee, v47
	v_fmac_f16_e32 v47, 0x3aee, v54
	v_mul_f16_e32 v54, 0x3aee, v88
	v_fmac_f16_e32 v55, 0x3aee, v58
	v_fmac_f16_e32 v59, 0.5, v88
	v_fmac_f16_e32 v90, 0xbaee, v53
	v_mul_f16_e32 v108, 0xbaee, v70
	v_mul_f16_e32 v111, -0.5, v63
	v_fmac_f16_e32 v113, 0xbaee, v63
	v_add_f16_e32 v63, v76, v77
	v_sub_f16_e32 v70, v76, v77
	v_add_f16_e32 v76, v13, v107
	v_sub_f16_e32 v13, v13, v107
	v_fmac_f16_e32 v54, 0.5, v60
	v_add_f16_e32 v60, v5, v55
	v_add_f16_e32 v88, v56, v48
	;; [unrolled: 1-line block ×4, first 2 shown]
	v_sub_f16_e32 v5, v5, v55
	v_sub_f16_e32 v55, v56, v48
	v_add_f16_e32 v48, v2, v50
	v_sub_f16_e32 v57, v57, v59
	v_sub_f16_e32 v59, v47, v90
	v_add_f16_e32 v47, v52, v39
	v_add_f16_e32 v90, v41, v40
	;; [unrolled: 1-line block ×3, first 2 shown]
	v_sub_f16_e32 v45, v89, v45
	v_add_f16_e32 v89, v50, v49
	v_sub_f16_e32 v56, v52, v39
	v_add_f16_e32 v48, v48, v49
	v_add_f16_e32 v52, v36, v52
	v_fmac_f16_e32 v36, -0.5, v47
	v_sub_f16_e32 v47, v50, v49
	v_add_f16_e32 v49, v43, v44
	v_add_f16_e32 v50, v38, v41
	v_fmac_f16_e32 v38, -0.5, v90
	v_sub_f16_e32 v90, v43, v44
	v_fmac_f16_e32 v2, -0.5, v89
	v_add_f16_e32 v43, v37, v43
	v_fmac_f16_e32 v37, -0.5, v49
	v_sub_f16_e32 v41, v41, v40
	v_add_f16_e32 v39, v52, v39
	v_fmamk_f16 v52, v90, 0x3aee, v38
	v_fmac_f16_e32 v38, 0xbaee, v90
	v_fmamk_f16 v89, v56, 0x3aee, v2
	v_fmac_f16_e32 v2, 0xbaee, v56
	v_fmamk_f16 v49, v47, 0xbaee, v36
	v_fmamk_f16 v56, v41, 0xbaee, v37
	v_fmac_f16_e32 v36, 0x3aee, v47
	v_add_f16_e32 v40, v50, v40
	v_fmac_f16_e32 v37, 0x3aee, v41
	v_mul_f16_e32 v47, -0.5, v38
	v_add_f16_e32 v53, v99, v54
	v_sub_f16_e32 v54, v99, v54
	v_mov_b32_e32 v99, 0x78
	v_mul_f16_e32 v50, -0.5, v37
	v_fmac_f16_e32 v47, 0x3aee, v37
	v_add_f16_e32 v37, v48, v40
	v_sub_f16_e32 v40, v48, v40
	v_mov_b32_e32 v48, 1
	v_mul_u32_u24_sdwa v8, v8, v99 dst_sel:DWORD dst_unused:UNUSED_PAD src0_sel:WORD_0 src1_sel:DWORD
	v_mul_u32_u24_sdwa v10, v10, v99 dst_sel:DWORD dst_unused:UNUSED_PAD src0_sel:WORD_0 src1_sel:DWORD
	v_fmac_f16_e32 v111, 0x3aee, v64
	v_add_f16_e32 v64, v9, v97
	v_lshlrev_b32_sdwa v11, v48, v11 dst_sel:DWORD dst_unused:UNUSED_PAD src0_sel:DWORD src1_sel:BYTE_0
	v_sub_f16_e32 v9, v9, v97
	s_barrier
	buffer_gl0_inv
	v_add3_u32 v8, 0, v8, v11
	v_lshlrev_b32_sdwa v11, v48, v15 dst_sel:DWORD dst_unused:UNUSED_PAD src0_sel:DWORD src1_sel:BYTE_0
	ds_write_b16 v8, v98
	ds_write_b16 v8, v63 offset:20
	ds_write_b16 v8, v64 offset:40
	;; [unrolled: 1-line block ×3, first 2 shown]
	v_add3_u32 v10, 0, v10, v11
	ds_write_b16 v8, v70 offset:80
	ds_write_b16 v8, v9 offset:100
	v_mul_u32_u24_sdwa v9, v12, v99 dst_sel:DWORD dst_unused:UNUSED_PAD src0_sel:WORD_0 src1_sel:DWORD
	v_lshlrev_b32_sdwa v11, v48, v14 dst_sel:DWORD dst_unused:UNUSED_PAD src0_sel:DWORD src1_sel:BYTE_0
	v_add_f16_e32 v86, v91, v110
	v_sub_f16_e32 v91, v91, v110
	v_add_f16_e32 v93, v7, v111
	v_sub_f16_e32 v7, v7, v111
	v_add3_u32 v12, 0, v9, v11
	v_mul_u32_u24_sdwa v9, v17, v99 dst_sel:DWORD dst_unused:UNUSED_PAD src0_sel:WORD_0 src1_sel:DWORD
	v_lshlrev_b32_sdwa v11, v48, v23 dst_sel:DWORD dst_unused:UNUSED_PAD src0_sel:DWORD src1_sel:BYTE_0
	v_mul_f16_e32 v41, 0x3aee, v56
	ds_write_b16 v10, v69
	ds_write_b16 v10, v75 offset:20
	ds_write_b16 v10, v76 offset:40
	;; [unrolled: 1-line block ×5, first 2 shown]
	ds_write_b16 v12, v102
	ds_write_b16 v12, v86 offset:20
	ds_write_b16 v12, v93 offset:40
	ds_write_b16 v12, v78 offset:60
	v_add3_u32 v14, 0, v9, v11
	ds_write_b16 v12, v91 offset:80
	ds_write_b16 v12, v7 offset:100
	v_mul_u32_u24_e32 v7, 0x78, v16
	v_lshlrev_b32_sdwa v9, v48, v19 dst_sel:DWORD dst_unused:UNUSED_PAD src0_sel:DWORD src1_sel:WORD_0
	v_add_f16_e32 v43, v43, v44
	v_mul_f16_e32 v44, 0xbaee, v52
	v_add_f16_e32 v65, v92, v114
	v_sub_f16_e32 v92, v92, v114
	v_fmac_f16_e32 v41, 0.5, v52
	v_add3_u32 v7, 0, v7, v9
	v_mul_u32_u24_e32 v9, 0x78, v18
	v_lshlrev_b32_sdwa v11, v48, v35 dst_sel:DWORD dst_unused:UNUSED_PAD src0_sel:DWORD src1_sel:WORD_0
	v_fmac_f16_e32 v108, 0.5, v79
	v_fmac_f16_e32 v44, 0.5, v56
	v_fmac_f16_e32 v50, 0xbaee, v38
	v_add_f16_e32 v38, v89, v41
	v_add_f16_e32 v52, v2, v47
	v_sub_f16_e32 v41, v89, v41
	v_sub_f16_e32 v2, v2, v47
	ds_write_b16 v14, v62
	ds_write_b16 v14, v65 offset:20
	ds_write_b16 v14, v66 offset:40
	;; [unrolled: 1-line block ×5, first 2 shown]
	ds_write_b16 v7, v58
	ds_write_b16 v7, v53 offset:20
	v_add3_u32 v53, 0, v9, v11
	v_add_f16_e32 v77, v94, v108
	v_add_f16_e32 v79, v82, v109
	v_sub_f16_e32 v83, v94, v108
	v_sub_f16_e32 v82, v82, v109
	v_add_f16_e32 v94, v95, v112
	v_add_f16_e32 v97, v81, v113
	v_sub_f16_e32 v95, v95, v112
	v_sub_f16_e32 v81, v81, v113
	v_add_f16_e32 v56, v39, v43
	v_add_f16_e32 v90, v49, v44
	;; [unrolled: 1-line block ×3, first 2 shown]
	v_sub_f16_e32 v108, v39, v43
	v_sub_f16_e32 v109, v49, v44
	;; [unrolled: 1-line block ×3, first 2 shown]
	ds_write_b16 v7, v60 offset:40
	ds_write_b16 v7, v45 offset:60
	;; [unrolled: 1-line block ×4, first 2 shown]
	ds_write_b16 v53, v37
	ds_write_b16 v53, v38 offset:20
	ds_write_b16 v53, v52 offset:40
	;; [unrolled: 1-line block ×5, first 2 shown]
	s_waitcnt lgkmcnt(0)
	s_barrier
	buffer_gl0_inv
	ds_read_u16 v50, v20 offset:960
	ds_read_u16 v42, v20 offset:1080
	;; [unrolled: 1-line block ×4, first 2 shown]
	ds_read_u16 v13, v20
	ds_read_u16 v6, v20 offset:360
	ds_read_u16 v5, v20 offset:480
	;; [unrolled: 1-line block ×28, first 2 shown]
	ds_read_u16 v9, v22
	ds_read_u16 v11, v21
	ds_read_u16 v15, v20 offset:4200
	s_waitcnt lgkmcnt(0)
	s_barrier
	buffer_gl0_inv
	ds_write_b16 v8, v100
	ds_write_b16 v8, v67 offset:20
	ds_write_b16 v8, v68 offset:40
	ds_write_b16 v8, v51 offset:60
	ds_write_b16 v8, v71 offset:80
	ds_write_b16 v8, v73 offset:100
	ds_write_b16 v10, v101
	ds_write_b16 v10, v77 offset:20
	ds_write_b16 v10, v79 offset:40
	ds_write_b16 v10, v85 offset:60
	ds_write_b16 v10, v83 offset:80
	ds_write_b16 v10, v82 offset:100
	;; [unrolled: 6-line block ×5, first 2 shown]
	ds_write_b16 v53, v56
	v_mul_u32_u24_e32 v7, 5, v26
	ds_write_b16 v53, v90 offset:20
	ds_write_b16 v53, v89 offset:40
	;; [unrolled: 1-line block ×5, first 2 shown]
	s_waitcnt lgkmcnt(0)
	s_barrier
	v_lshlrev_b32_e32 v23, 2, v7
	buffer_gl0_inv
	v_mul_u32_u24_e32 v7, 5, v1
	v_mul_u32_u24_e32 v8, 5, v4
	v_lshl_add_u32 v1, v1, 1, 0
	s_clause 0x1
	global_load_dwordx4 v[51:54], v23, s[8:9] offset:200
	global_load_dword v71, v23, s[8:9] offset:216
	v_lshlrev_b32_e32 v7, 2, v7
	v_lshlrev_b32_e32 v10, 2, v8
	v_mov_b32_e32 v8, 0x8889
	v_lshl_add_u32 v4, v4, 1, 0
	s_clause 0x1
	global_load_dwordx4 v[55:58], v7, s[8:9] offset:200
	global_load_dword v72, v7, s[8:9] offset:216
	v_mul_u32_u24_sdwa v12, v34, v8 dst_sel:DWORD dst_unused:UNUSED_PAD src0_sel:WORD_0 src1_sel:DWORD
	s_clause 0x1
	global_load_dwordx4 v[59:62], v10, s[8:9] offset:200
	global_load_dword v73, v10, s[8:9] offset:216
	v_mul_u32_u24_sdwa v14, v33, v8 dst_sel:DWORD dst_unused:UNUSED_PAD src0_sel:WORD_0 src1_sel:DWORD
	v_lshrrev_b32_e32 v12, 21, v12
	v_mul_lo_u16 v12, v12, 60
	v_sub_nc_u16 v12, v34, v12
	v_and_b32_e32 v8, 0xffff, v12
	v_lshrrev_b32_e32 v12, 21, v14
	v_mul_u32_u24_e32 v14, 5, v8
	v_mul_lo_u16 v7, v12, 60
	v_lshl_add_u32 v8, v8, 1, 0
	v_lshlrev_b32_e32 v12, 2, v14
	v_sub_nc_u16 v7, v33, v7
	global_load_dwordx4 v[63:66], v12, s[8:9] offset:200
	v_and_b32_e32 v7, 0xffff, v7
	v_mul_u32_u24_e32 v10, 5, v7
	v_lshlrev_b32_e32 v10, 2, v10
	s_clause 0x2
	global_load_dword v74, v12, s[8:9] offset:216
	global_load_dwordx4 v[67:70], v10, s[8:9] offset:200
	global_load_dword v77, v10, s[8:9] offset:216
	ds_read_u16 v79, v20 offset:1440
	ds_read_u16 v81, v20 offset:2880
	;; [unrolled: 1-line block ×10, first 2 shown]
	ds_read_u16 v95, v20
	ds_read_u16 v14, v20 offset:360
	ds_read_u16 v12, v20 offset:480
	;; [unrolled: 1-line block ×15, first 2 shown]
	s_waitcnt vmcnt(9)
	v_mul_f16_sdwa v111, v91, v52 dst_sel:DWORD dst_unused:UNUSED_PAD src0_sel:DWORD src1_sel:WORD_1
	v_mul_f16_sdwa v109, v80, v51 dst_sel:DWORD dst_unused:UNUSED_PAD src0_sel:DWORD src1_sel:WORD_1
	s_waitcnt lgkmcnt(25)
	v_mul_f16_sdwa v110, v79, v52 dst_sel:DWORD dst_unused:UNUSED_PAD src0_sel:DWORD src1_sel:WORD_1
	s_waitcnt lgkmcnt(22)
	v_mul_f16_sdwa v108, v83, v51 dst_sel:DWORD dst_unused:UNUSED_PAD src0_sel:DWORD src1_sel:WORD_1
	v_mul_f16_sdwa v113, v75, v53 dst_sel:DWORD dst_unused:UNUSED_PAD src0_sel:DWORD src1_sel:WORD_1
	v_fmac_f16_e32 v111, v79, v52
	v_mul_f16_sdwa v79, v93, v54 dst_sel:DWORD dst_unused:UNUSED_PAD src0_sel:DWORD src1_sel:WORD_1
	v_fmac_f16_e32 v109, v83, v51
	v_fma_f16 v83, v91, v52, -v110
	v_mul_f16_sdwa v91, v81, v54 dst_sel:DWORD dst_unused:UNUSED_PAD src0_sel:DWORD src1_sel:WORD_1
	s_waitcnt lgkmcnt(18)
	v_mul_f16_sdwa v112, v89, v53 dst_sel:DWORD dst_unused:UNUSED_PAD src0_sel:DWORD src1_sel:WORD_1
	v_fmac_f16_e32 v79, v81, v54
	v_mul_f16_sdwa v81, v86, v52 dst_sel:DWORD dst_unused:UNUSED_PAD src0_sel:DWORD src1_sel:WORD_1
	v_fmac_f16_e32 v113, v89, v53
	v_fma_f16 v89, v93, v54, -v91
	v_mul_f16_sdwa v93, v78, v51 dst_sel:DWORD dst_unused:UNUSED_PAD src0_sel:DWORD src1_sel:WORD_1
	v_fma_f16 v80, v80, v51, -v108
	v_mul_f16_sdwa v91, v85, v51 dst_sel:DWORD dst_unused:UNUSED_PAD src0_sel:DWORD src1_sel:WORD_1
	s_waitcnt lgkmcnt(6)
	v_mul_f16_sdwa v108, v101, v52 dst_sel:DWORD dst_unused:UNUSED_PAD src0_sel:DWORD src1_sel:WORD_1
	v_fmac_f16_e32 v81, v101, v52
	ds_read_u16 v101, v20 offset:3120
	v_fmac_f16_e32 v93, v85, v51
	v_mul_f16_sdwa v85, v97, v53 dst_sel:DWORD dst_unused:UNUSED_PAD src0_sel:DWORD src1_sel:WORD_1
	v_fma_f16 v78, v78, v51, -v91
	v_fma_f16 v51, v86, v52, -v108
	v_mul_f16_sdwa v52, v76, v53 dst_sel:DWORD dst_unused:UNUSED_PAD src0_sel:DWORD src1_sel:WORD_1
	v_mul_f16_sdwa v86, v82, v54 dst_sel:DWORD dst_unused:UNUSED_PAD src0_sel:DWORD src1_sel:WORD_1
	;; [unrolled: 1-line block ×3, first 2 shown]
	v_fma_f16 v76, v76, v53, -v85
	s_waitcnt vmcnt(7)
	v_mul_f16_sdwa v85, v87, v55 dst_sel:DWORD dst_unused:UNUSED_PAD src0_sel:DWORD src1_sel:WORD_1
	v_fma_f16 v75, v75, v53, -v112
	v_fmac_f16_e32 v52, v97, v53
	v_fma_f16 v53, v92, v54, -v86
	v_fmac_f16_e32 v91, v82, v54
	ds_read_u16 v82, v20 offset:3240
	v_mul_f16_sdwa v54, v50, v55 dst_sel:DWORD dst_unused:UNUSED_PAD src0_sel:DWORD src1_sel:WORD_1
	s_waitcnt lgkmcnt(7)
	v_mul_f16_sdwa v86, v102, v56 dst_sel:DWORD dst_unused:UNUSED_PAD src0_sel:DWORD src1_sel:WORD_1
	v_fma_f16 v50, v50, v55, -v85
	v_mul_f16_sdwa v85, v84, v56 dst_sel:DWORD dst_unused:UNUSED_PAD src0_sel:DWORD src1_sel:WORD_1
	v_fmac_f16_e32 v54, v87, v55
	v_mul_f16_sdwa v55, v98, v57 dst_sel:DWORD dst_unused:UNUSED_PAD src0_sel:DWORD src1_sel:WORD_1
	v_fma_f16 v84, v84, v56, -v86
	v_mul_f16_sdwa v86, v47, v57 dst_sel:DWORD dst_unused:UNUSED_PAD src0_sel:DWORD src1_sel:WORD_1
	v_fmac_f16_e32 v85, v102, v56
	ds_read_u16 v56, v20 offset:3720
	ds_read_u16 v87, v20 offset:3600
	;; [unrolled: 1-line block ×4, first 2 shown]
	s_waitcnt lgkmcnt(5)
	v_mul_f16_sdwa v102, v101, v58 dst_sel:DWORD dst_unused:UNUSED_PAD src0_sel:DWORD src1_sel:WORD_1
	v_fma_f16 v47, v47, v57, -v55
	v_mul_f16_sdwa v55, v48, v58 dst_sel:DWORD dst_unused:UNUSED_PAD src0_sel:DWORD src1_sel:WORD_1
	v_fmac_f16_e32 v86, v98, v57
	s_waitcnt vmcnt(5)
	v_mul_f16_sdwa v57, v88, v59 dst_sel:DWORD dst_unused:UNUSED_PAD src0_sel:DWORD src1_sel:WORD_1
	v_mul_f16_sdwa v98, v42, v59 dst_sel:DWORD dst_unused:UNUSED_PAD src0_sel:DWORD src1_sel:WORD_1
	v_fma_f16 v48, v48, v58, -v102
	v_fmac_f16_e32 v55, v101, v58
	v_mul_f16_sdwa v58, v103, v60 dst_sel:DWORD dst_unused:UNUSED_PAD src0_sel:DWORD src1_sel:WORD_1
	v_fma_f16 v42, v42, v59, -v57
	v_mul_f16_sdwa v57, v49, v60 dst_sel:DWORD dst_unused:UNUSED_PAD src0_sel:DWORD src1_sel:WORD_1
	v_fmac_f16_e32 v98, v88, v59
	v_mul_f16_sdwa v59, v99, v61 dst_sel:DWORD dst_unused:UNUSED_PAD src0_sel:DWORD src1_sel:WORD_1
	v_fma_f16 v49, v49, v60, -v58
	v_mul_f16_sdwa v58, v43, v61 dst_sel:DWORD dst_unused:UNUSED_PAD src0_sel:DWORD src1_sel:WORD_1
	v_fmac_f16_e32 v57, v103, v60
	s_waitcnt lgkmcnt(4)
	v_mul_f16_sdwa v60, v82, v62 dst_sel:DWORD dst_unused:UNUSED_PAD src0_sel:DWORD src1_sel:WORD_1
	v_fma_f16 v43, v43, v61, -v59
	v_mul_f16_sdwa v59, v44, v62 dst_sel:DWORD dst_unused:UNUSED_PAD src0_sel:DWORD src1_sel:WORD_1
	v_fmac_f16_e32 v58, v99, v61
	s_waitcnt lgkmcnt(2)
	v_mul_f16_sdwa v61, v87, v71 dst_sel:DWORD dst_unused:UNUSED_PAD src0_sel:DWORD src1_sel:WORD_1
	v_fma_f16 v44, v44, v62, -v60
	v_mul_f16_sdwa v60, v46, v71 dst_sel:DWORD dst_unused:UNUSED_PAD src0_sel:DWORD src1_sel:WORD_1
	v_fmac_f16_e32 v59, v82, v62
	v_mul_f16_sdwa v62, v56, v71 dst_sel:DWORD dst_unused:UNUSED_PAD src0_sel:DWORD src1_sel:WORD_1
	v_fma_f16 v46, v46, v71, -v61
	v_mul_f16_sdwa v61, v45, v71 dst_sel:DWORD dst_unused:UNUSED_PAD src0_sel:DWORD src1_sel:WORD_1
	ds_read_u16 v82, v20 offset:4080
	s_waitcnt vmcnt(3)
	v_mul_f16_sdwa v99, v38, v63 dst_sel:DWORD dst_unused:UNUSED_PAD src0_sel:DWORD src1_sel:WORD_1
	v_fma_f16 v45, v45, v71, -v62
	v_mul_f16_sdwa v62, v90, v72 dst_sel:DWORD dst_unused:UNUSED_PAD src0_sel:DWORD src1_sel:WORD_1
	v_fmac_f16_e32 v61, v56, v71
	v_mul_f16_sdwa v56, v39, v72 dst_sel:DWORD dst_unused:UNUSED_PAD src0_sel:DWORD src1_sel:WORD_1
	v_fmac_f16_e32 v60, v87, v71
	ds_read_u16 v71, v22
	ds_read_u16 v87, v21
	ds_read_u16 v88, v20 offset:4200
	v_fma_f16 v39, v39, v72, -v62
	v_mul_f16_sdwa v62, v94, v73 dst_sel:DWORD dst_unused:UNUSED_PAD src0_sel:DWORD src1_sel:WORD_1
	v_fmac_f16_e32 v56, v90, v72
	v_mul_f16_sdwa v72, v37, v73 dst_sel:DWORD dst_unused:UNUSED_PAD src0_sel:DWORD src1_sel:WORD_1
	v_mul_f16_sdwa v90, v96, v63 dst_sel:DWORD dst_unused:UNUSED_PAD src0_sel:DWORD src1_sel:WORD_1
	v_fmac_f16_e32 v99, v96, v63
	v_fma_f16 v62, v37, v73, -v62
	v_mul_f16_sdwa v37, v104, v64 dst_sel:DWORD dst_unused:UNUSED_PAD src0_sel:DWORD src1_sel:WORD_1
	v_fmac_f16_e32 v72, v94, v73
	v_fma_f16 v73, v38, v63, -v90
	v_mul_f16_sdwa v63, v41, v64 dst_sel:DWORD dst_unused:UNUSED_PAD src0_sel:DWORD src1_sel:WORD_1
	v_mul_f16_sdwa v90, v19, v65 dst_sel:DWORD dst_unused:UNUSED_PAD src0_sel:DWORD src1_sel:WORD_1
	v_fma_f16 v41, v41, v64, -v37
	v_mul_f16_sdwa v37, v100, v65 dst_sel:DWORD dst_unused:UNUSED_PAD src0_sel:DWORD src1_sel:WORD_1
	s_waitcnt lgkmcnt(4)
	v_mul_f16_sdwa v38, v97, v66 dst_sel:DWORD dst_unused:UNUSED_PAD src0_sel:DWORD src1_sel:WORD_1
	v_fmac_f16_e32 v63, v104, v64
	v_mul_f16_sdwa v64, v36, v66 dst_sel:DWORD dst_unused:UNUSED_PAD src0_sel:DWORD src1_sel:WORD_1
	v_fmac_f16_e32 v90, v100, v65
	v_fma_f16 v94, v19, v65, -v37
	s_waitcnt vmcnt(2) lgkmcnt(3)
	v_mul_f16_sdwa v19, v82, v74 dst_sel:DWORD dst_unused:UNUSED_PAD src0_sel:DWORD src1_sel:WORD_1
	v_fma_f16 v65, v36, v66, -v38
	v_fmac_f16_e32 v64, v97, v66
	v_mul_f16_sdwa v66, v16, v74 dst_sel:DWORD dst_unused:UNUSED_PAD src0_sel:DWORD src1_sel:WORD_1
	s_waitcnt vmcnt(1)
	v_mul_f16_sdwa v36, v106, v67 dst_sel:DWORD dst_unused:UNUSED_PAD src0_sel:DWORD src1_sel:WORD_1
	v_mul_f16_sdwa v37, v40, v67 dst_sel:DWORD dst_unused:UNUSED_PAD src0_sel:DWORD src1_sel:WORD_1
	v_fma_f16 v96, v16, v74, -v19
	v_mul_f16_sdwa v16, v105, v68 dst_sel:DWORD dst_unused:UNUSED_PAD src0_sel:DWORD src1_sel:WORD_1
	v_fmac_f16_e32 v66, v82, v74
	v_fma_f16 v36, v40, v67, -v36
	v_fmac_f16_e32 v37, v106, v67
	v_mul_f16_sdwa v40, v17, v68 dst_sel:DWORD dst_unused:UNUSED_PAD src0_sel:DWORD src1_sel:WORD_1
	v_fma_f16 v67, v17, v68, -v16
	v_mul_f16_sdwa v16, v107, v69 dst_sel:DWORD dst_unused:UNUSED_PAD src0_sel:DWORD src1_sel:WORD_1
	v_mul_f16_sdwa v74, v18, v69 dst_sel:DWORD dst_unused:UNUSED_PAD src0_sel:DWORD src1_sel:WORD_1
	;; [unrolled: 1-line block ×3, first 2 shown]
	v_fmac_f16_e32 v40, v105, v68
	v_mul_f16_sdwa v38, v35, v70 dst_sel:DWORD dst_unused:UNUSED_PAD src0_sel:DWORD src1_sel:WORD_1
	v_fma_f16 v68, v18, v69, -v16
	v_fmac_f16_e32 v74, v107, v69
	v_fma_f16 v69, v35, v70, -v17
	s_waitcnt vmcnt(0) lgkmcnt(0)
	v_mul_f16_sdwa v17, v88, v77 dst_sel:DWORD dst_unused:UNUSED_PAD src0_sel:DWORD src1_sel:WORD_1
	v_mul_f16_sdwa v35, v15, v77 dst_sel:DWORD dst_unused:UNUSED_PAD src0_sel:DWORD src1_sel:WORD_1
	v_add_f16_e32 v16, v83, v89
	v_fmac_f16_e32 v38, v92, v70
	v_add_f16_e32 v18, v13, v83
	v_fma_f16 v70, v15, v77, -v17
	v_fmac_f16_e32 v35, v88, v77
	v_add_f16_e32 v15, v111, v79
	v_add_f16_e32 v77, v75, v46
	v_fmac_f16_e32 v13, -0.5, v16
	v_sub_f16_e32 v16, v111, v79
	v_add_f16_e32 v17, v95, v111
	v_fmac_f16_e32 v95, -0.5, v15
	v_sub_f16_e32 v15, v83, v89
	v_add_f16_e32 v82, v113, v60
	v_add_f16_e32 v83, v80, v75
	v_fmac_f16_e32 v80, -0.5, v77
	v_sub_f16_e32 v77, v113, v60
	v_fmamk_f16 v19, v16, 0x3aee, v13
	v_add_f16_e32 v88, v109, v113
	v_fmac_f16_e32 v109, -0.5, v82
	v_sub_f16_e32 v75, v75, v46
	v_fmac_f16_e32 v13, 0xbaee, v16
	v_fmamk_f16 v16, v77, 0x3aee, v80
	v_fmac_f16_e32 v80, 0xbaee, v77
	v_add_f16_e32 v79, v17, v79
	v_fmamk_f16 v17, v75, 0xbaee, v109
	v_fmac_f16_e32 v109, 0x3aee, v75
	v_add_f16_e32 v18, v18, v89
	v_mul_f16_e32 v77, -0.5, v80
	v_add_f16_e32 v46, v83, v46
	v_mul_f16_e32 v75, 0x3aee, v17
	v_add_f16_e32 v60, v88, v60
	v_mul_f16_e32 v83, 0xbaee, v16
	v_mul_f16_e32 v88, -0.5, v109
	v_fmac_f16_e32 v77, 0x3aee, v109
	v_fmamk_f16 v82, v15, 0xbaee, v95
	v_fmac_f16_e32 v95, 0x3aee, v15
	v_fmac_f16_e32 v75, 0.5, v16
	v_add_f16_e32 v89, v18, v46
	v_fmac_f16_e32 v83, 0.5, v17
	v_fmac_f16_e32 v88, 0xbaee, v80
	v_add_f16_e32 v92, v13, v77
	v_add_f16_e32 v15, v79, v60
	v_sub_f16_e32 v46, v18, v46
	v_add_f16_e32 v18, v51, v53
	v_sub_f16_e32 v77, v13, v77
	v_sub_f16_e32 v13, v79, v60
	v_add_f16_e32 v60, v11, v51
	v_add_f16_e32 v80, v19, v75
	;; [unrolled: 1-line block ×4, first 2 shown]
	v_sub_f16_e32 v75, v19, v75
	v_fmac_f16_e32 v11, -0.5, v18
	v_sub_f16_e32 v18, v82, v83
	v_sub_f16_e32 v19, v95, v88
	v_add_f16_e32 v82, v81, v91
	v_add_f16_e32 v60, v60, v53
	;; [unrolled: 1-line block ×3, first 2 shown]
	v_sub_f16_e32 v51, v51, v53
	v_add_f16_e32 v53, v52, v61
	v_sub_f16_e32 v79, v81, v91
	v_add_f16_e32 v81, v87, v81
	v_fmac_f16_e32 v87, -0.5, v82
	v_add_f16_e32 v82, v78, v76
	v_fmac_f16_e32 v78, -0.5, v88
	v_sub_f16_e32 v88, v52, v61
	v_add_f16_e32 v52, v93, v52
	v_fmac_f16_e32 v93, -0.5, v53
	v_sub_f16_e32 v53, v76, v45
	v_add_f16_e32 v76, v81, v91
	v_fmamk_f16 v81, v88, 0x3aee, v78
	v_fmac_f16_e32 v78, 0xbaee, v88
	v_fmamk_f16 v83, v79, 0x3aee, v11
	v_fmamk_f16 v91, v53, 0xbaee, v93
	v_fmac_f16_e32 v11, 0xbaee, v79
	v_fmamk_f16 v79, v51, 0xbaee, v87
	v_fmac_f16_e32 v87, 0x3aee, v51
	v_add_f16_e32 v45, v82, v45
	v_fmac_f16_e32 v93, 0x3aee, v53
	v_mul_f16_e32 v51, 0x3aee, v91
	v_mul_f16_e32 v53, -0.5, v78
	v_add_f16_e32 v52, v52, v61
	v_mul_f16_e32 v61, 0xbaee, v81
	v_mul_f16_e32 v82, -0.5, v93
	v_fmac_f16_e32 v51, 0.5, v81
	v_fmac_f16_e32 v53, 0x3aee, v93
	v_add_f16_e32 v81, v60, v45
	v_sub_f16_e32 v45, v60, v45
	v_add_f16_e32 v60, v84, v48
	v_fmac_f16_e32 v61, 0.5, v91
	v_fmac_f16_e32 v82, 0xbaee, v78
	v_add_f16_e32 v78, v83, v51
	v_add_f16_e32 v88, v11, v53
	v_add_f16_e32 v91, v76, v52
	v_sub_f16_e32 v51, v83, v51
	v_sub_f16_e32 v11, v11, v53
	;; [unrolled: 1-line block ×3, first 2 shown]
	v_add_f16_e32 v52, v9, v84
	v_fmac_f16_e32 v9, -0.5, v60
	v_sub_f16_e32 v53, v85, v55
	v_add_f16_e32 v60, v85, v55
	v_add_f16_e32 v83, v71, v85
	;; [unrolled: 1-line block ×4, first 2 shown]
	v_sub_f16_e32 v48, v84, v48
	v_fmac_f16_e32 v71, -0.5, v60
	v_add_f16_e32 v60, v86, v56
	v_add_f16_e32 v84, v50, v47
	v_fmac_f16_e32 v50, -0.5, v85
	v_sub_f16_e32 v85, v86, v56
	v_add_f16_e32 v86, v54, v86
	v_fmac_f16_e32 v54, -0.5, v60
	v_sub_f16_e32 v47, v47, v39
	v_add_f16_e32 v93, v79, v61
	v_fmamk_f16 v60, v85, 0x3aee, v50
	v_fmac_f16_e32 v50, 0xbaee, v85
	v_sub_f16_e32 v79, v79, v61
	v_fmamk_f16 v61, v53, 0x3aee, v9
	v_fmac_f16_e32 v9, 0xbaee, v53
	v_add_f16_e32 v53, v83, v55
	v_fmamk_f16 v55, v48, 0xbaee, v71
	v_fmamk_f16 v83, v47, 0xbaee, v54
	v_fmac_f16_e32 v71, 0x3aee, v48
	v_add_f16_e32 v39, v84, v39
	v_fmac_f16_e32 v54, 0x3aee, v47
	v_mul_f16_e32 v48, -0.5, v50
	v_mul_f16_e32 v47, 0x3aee, v83
	v_add_f16_e32 v56, v86, v56
	v_mul_f16_e32 v84, 0xbaee, v60
	v_mul_f16_e32 v85, -0.5, v54
	v_fmac_f16_e32 v48, 0x3aee, v54
	v_add_f16_e32 v54, v52, v39
	v_sub_f16_e32 v39, v52, v39
	v_add_f16_e32 v52, v49, v44
	v_fmac_f16_e32 v47, 0.5, v60
	v_fmac_f16_e32 v84, 0.5, v83
	v_add_f16_e32 v60, v9, v48
	v_add_f16_e32 v83, v53, v56
	v_sub_f16_e32 v9, v9, v48
	v_sub_f16_e32 v97, v53, v56
	v_add_f16_e32 v48, v6, v49
	v_fmac_f16_e32 v6, -0.5, v52
	v_sub_f16_e32 v52, v57, v59
	v_add_f16_e32 v53, v57, v59
	v_add_f16_e32 v56, v14, v57
	;; [unrolled: 1-line block ×4, first 2 shown]
	v_sub_f16_e32 v44, v49, v44
	v_fmac_f16_e32 v14, -0.5, v53
	v_add_f16_e32 v49, v58, v72
	v_add_f16_e32 v53, v42, v43
	v_fmac_f16_e32 v42, -0.5, v57
	v_sub_f16_e32 v57, v58, v72
	v_add_f16_e32 v58, v98, v58
	v_fmac_f16_e32 v98, -0.5, v49
	v_sub_f16_e32 v43, v43, v62
	v_add_f16_e32 v49, v56, v59
	v_fmamk_f16 v56, v57, 0x3aee, v42
	v_fmac_f16_e32 v42, 0xbaee, v57
	v_add_f16_e32 v57, v58, v72
	v_fmamk_f16 v59, v43, 0xbaee, v98
	v_fmac_f16_e32 v85, 0xbaee, v50
	v_mul_f16_e32 v58, 0xbaee, v56
	v_add_f16_e32 v86, v55, v84
	v_sub_f16_e32 v84, v55, v84
	v_fmamk_f16 v55, v52, 0x3aee, v6
	v_fmac_f16_e32 v6, 0xbaee, v52
	v_fmamk_f16 v52, v44, 0xbaee, v14
	v_fmac_f16_e32 v98, 0x3aee, v43
	v_mul_f16_e32 v43, 0x3aee, v59
	v_fmac_f16_e32 v58, 0.5, v59
	v_add_f16_e32 v95, v87, v82
	v_sub_f16_e32 v82, v87, v82
	v_add_f16_e32 v50, v61, v47
	v_add_f16_e32 v87, v71, v85
	v_sub_f16_e32 v47, v61, v47
	v_sub_f16_e32 v71, v71, v85
	v_mul_f16_e32 v61, -0.5, v98
	v_fmac_f16_e32 v43, 0.5, v56
	v_add_f16_e32 v72, v49, v57
	v_add_f16_e32 v85, v52, v58
	v_sub_f16_e32 v100, v49, v57
	v_sub_f16_e32 v101, v52, v58
	v_add_f16_e32 v52, v63, v64
	v_add_f16_e32 v57, v94, v96
	v_fmac_f16_e32 v14, 0x3aee, v44
	v_add_f16_e32 v44, v53, v62
	v_mul_f16_e32 v53, -0.5, v42
	v_fmac_f16_e32 v61, 0xbaee, v42
	v_add_f16_e32 v42, v55, v43
	v_sub_f16_e32 v43, v55, v43
	v_add_f16_e32 v55, v12, v63
	v_fmac_f16_e32 v12, -0.5, v52
	v_add_f16_e32 v52, v90, v66
	v_add_f16_e32 v58, v73, v94
	v_fmac_f16_e32 v73, -0.5, v57
	v_sub_f16_e32 v57, v90, v66
	v_fmac_f16_e32 v53, 0x3aee, v98
	v_add_f16_e32 v56, v48, v44
	v_add_f16_e32 v98, v14, v61
	v_sub_f16_e32 v44, v48, v44
	v_add_f16_e32 v48, v41, v65
	v_sub_f16_e32 v14, v14, v61
	v_add_f16_e32 v61, v99, v90
	v_fmac_f16_e32 v99, -0.5, v52
	v_sub_f16_e32 v52, v94, v96
	v_fmamk_f16 v62, v57, 0x3aee, v73
	v_fmac_f16_e32 v73, 0xbaee, v57
	v_add_f16_e32 v49, v5, v41
	v_fmac_f16_e32 v5, -0.5, v48
	v_sub_f16_e32 v48, v63, v64
	v_sub_f16_e32 v41, v41, v65
	v_fmamk_f16 v63, v52, 0xbaee, v99
	v_fmac_f16_e32 v99, 0x3aee, v52
	v_mul_f16_e32 v57, -0.5, v73
	v_add_f16_e32 v59, v6, v53
	v_sub_f16_e32 v6, v6, v53
	v_add_f16_e32 v49, v49, v65
	v_fmamk_f16 v53, v48, 0x3aee, v5
	v_fmac_f16_e32 v5, 0xbaee, v48
	v_add_f16_e32 v48, v55, v64
	v_fmamk_f16 v55, v41, 0xbaee, v12
	v_fmac_f16_e32 v12, 0x3aee, v41
	v_add_f16_e32 v41, v58, v96
	v_mul_f16_e32 v52, 0x3aee, v63
	v_add_f16_e32 v58, v61, v66
	v_mul_f16_e32 v61, 0xbaee, v62
	v_mul_f16_e32 v64, -0.5, v99
	v_fmac_f16_e32 v57, 0x3aee, v99
	v_fmac_f16_e32 v52, 0.5, v62
	v_add_f16_e32 v62, v49, v41
	v_fmac_f16_e32 v61, 0.5, v63
	v_fmac_f16_e32 v64, 0xbaee, v73
	v_add_f16_e32 v65, v5, v57
	v_add_f16_e32 v73, v48, v58
	v_sub_f16_e32 v41, v49, v41
	v_add_f16_e32 v49, v67, v69
	v_sub_f16_e32 v5, v5, v57
	v_sub_f16_e32 v96, v48, v58
	v_add_f16_e32 v57, v68, v70
	v_add_f16_e32 v58, v74, v35
	;; [unrolled: 1-line block ×5, first 2 shown]
	v_fmac_f16_e32 v2, -0.5, v49
	v_sub_f16_e32 v49, v40, v38
	v_sub_f16_e32 v99, v55, v61
	;; [unrolled: 1-line block ×3, first 2 shown]
	v_add_f16_e32 v61, v36, v68
	v_fmac_f16_e32 v36, -0.5, v57
	v_sub_f16_e32 v57, v74, v35
	v_add_f16_e32 v64, v37, v74
	v_fmac_f16_e32 v37, -0.5, v58
	v_sub_f16_e32 v58, v68, v70
	v_add_f16_e32 v63, v53, v52
	v_sub_f16_e32 v52, v53, v52
	v_add_f16_e32 v53, v40, v38
	v_fmamk_f16 v55, v49, 0x3aee, v2
	v_fmac_f16_e32 v2, 0xbaee, v49
	v_fmamk_f16 v49, v57, 0x3aee, v36
	v_fmamk_f16 v66, v58, 0xbaee, v37
	v_fmac_f16_e32 v36, 0xbaee, v57
	v_add_f16_e32 v40, v10, v40
	v_fmac_f16_e32 v10, -0.5, v53
	v_sub_f16_e32 v53, v67, v69
	v_fmac_f16_e32 v37, 0x3aee, v58
	v_mul_f16_e32 v57, 0x3aee, v66
	v_mul_f16_e32 v58, -0.5, v36
	v_add_f16_e32 v38, v40, v38
	v_fmamk_f16 v40, v53, 0xbaee, v10
	v_fmac_f16_e32 v10, 0x3aee, v53
	v_add_f16_e32 v53, v61, v70
	v_add_f16_e32 v35, v64, v35
	v_mul_f16_e32 v61, 0xbaee, v49
	v_mul_f16_e32 v64, -0.5, v37
	v_add_f16_e32 v48, v48, v69
	v_fmac_f16_e32 v57, 0.5, v49
	v_fmac_f16_e32 v58, 0x3aee, v37
	v_fmac_f16_e32 v61, 0.5, v66
	v_fmac_f16_e32 v64, 0xbaee, v36
	v_add_f16_e32 v37, v48, v53
	v_add_f16_e32 v36, v55, v57
	;; [unrolled: 1-line block ×3, first 2 shown]
	v_sub_f16_e32 v48, v48, v53
	v_sub_f16_e32 v53, v55, v57
	s_barrier
	buffer_gl0_inv
	ds_write_b16 v20, v89
	ds_write_b16 v20, v80 offset:120
	ds_write_b16 v20, v92 offset:240
	;; [unrolled: 1-line block ×25, first 2 shown]
	v_lshl_add_u32 v6, v7, 1, 0
	v_add_f16_e32 v74, v38, v35
	v_add_f16_e32 v102, v40, v61
	v_add_f16_e32 v103, v10, v64
	v_sub_f16_e32 v2, v2, v58
	v_sub_f16_e32 v104, v38, v35
	;; [unrolled: 1-line block ×4, first 2 shown]
	ds_write_b16 v8, v65 offset:3120
	ds_write_b16 v8, v41 offset:3240
	;; [unrolled: 1-line block ×10, first 2 shown]
	s_waitcnt lgkmcnt(0)
	s_barrier
	buffer_gl0_inv
	ds_read_u16 v49, v20 offset:960
	ds_read_u16 v55, v20 offset:1080
	;; [unrolled: 1-line block ×4, first 2 shown]
	ds_read_u16 v35, v20
	ds_read_u16 v46, v20 offset:360
	ds_read_u16 v50, v20 offset:480
	;; [unrolled: 1-line block ×28, first 2 shown]
	ds_read_u16 v44, v22
	ds_read_u16 v41, v21
	ds_read_u16 v69, v20 offset:4200
	s_waitcnt lgkmcnt(0)
	s_barrier
	buffer_gl0_inv
	ds_write_b16 v20, v15
	ds_write_b16 v20, v16 offset:120
	ds_write_b16 v20, v17 offset:240
	;; [unrolled: 1-line block ×35, first 2 shown]
	s_waitcnt lgkmcnt(0)
	s_barrier
	buffer_gl0_inv
	s_and_saveexec_b32 s0, vcc_lo
	s_cbranch_execz .LBB0_21
; %bb.20:
	v_mul_u32_u24_e32 v1, 5, v33
	v_mov_b32_e32 v2, 0
	v_add_co_u32 v84, s0, s8, v23
	v_add_co_ci_u32_e64 v85, null, s9, 0, s0
	v_lshlrev_b32_e32 v8, 2, v1
	v_mad_u32_u24 v1, v33, 5, 0xfffffed4
	s_clause 0x1
	global_load_dwordx4 v[4:7], v8, s[8:9] offset:1400
	global_load_dword v72, v8, s[8:9] offset:1416
	v_lshlrev_b64 v[8:9], 2, v[1:2]
	v_mad_u32_u24 v1, v33, 5, 0xfffffda8
	v_add_co_u32 v8, vcc_lo, s8, v8
	v_add_co_ci_u32_e32 v9, vcc_lo, s9, v9, vcc_lo
	s_clause 0x1
	global_load_dwordx4 v[12:15], v[8:9], off offset:1400
	global_load_dword v76, v[8:9], off offset:1416
	v_lshlrev_b64 v[8:9], 2, v[1:2]
	v_mul_i32_i24_e32 v1, 5, v3
	v_add_co_u32 v8, vcc_lo, s8, v8
	v_add_co_ci_u32_e32 v9, vcc_lo, s9, v9, vcc_lo
	s_clause 0x1
	global_load_dwordx4 v[16:19], v[8:9], off offset:1400
	global_load_dword v74, v[8:9], off offset:1416
	v_lshlrev_b64 v[8:9], 2, v[1:2]
	v_mul_i32_i24_e32 v1, 5, v0
	v_add_co_u32 v77, vcc_lo, s8, v8
	v_lshlrev_b64 v[0:1], 2, v[1:2]
	v_add_co_ci_u32_e32 v78, vcc_lo, s9, v9, vcc_lo
	s_clause 0x1
	global_load_dwordx4 v[8:11], v[77:78], off offset:1400
	global_load_dword v73, v[77:78], off offset:1416
	v_add_co_u32 v0, vcc_lo, s8, v0
	v_add_co_ci_u32_e32 v1, vcc_lo, s9, v1, vcc_lo
	s_clause 0x1
	global_load_dword v71, v[0:1], off offset:1416
	global_load_dwordx4 v[0:3], v[0:1], off offset:1400
	ds_read_u16 v86, v20 offset:2760
	ds_read_u16 v87, v20 offset:2040
	;; [unrolled: 1-line block ×19, first 2 shown]
	ds_read_u16 v103, v22
	ds_read_u16 v83, v21
	ds_read_u16 v104, v20 offset:3000
	ds_read_u16 v80, v20 offset:2880
	;; [unrolled: 1-line block ×9, first 2 shown]
	ds_read_u16 v75, v20
	ds_read_u16 v111, v20 offset:2640
	ds_read_u16 v112, v20 offset:2520
	;; [unrolled: 1-line block ×5, first 2 shown]
	s_clause 0x1
	global_load_dwordx4 v[20:23], v[84:85], off offset:1400
	global_load_dword v81, v[84:85], off offset:1416
	s_waitcnt vmcnt(11)
	v_lshrrev_b32_e32 v84, 16, v4
	v_lshrrev_b32_e32 v85, 16, v5
	;; [unrolled: 1-line block ×3, first 2 shown]
	s_waitcnt lgkmcnt(34)
	v_mul_f16_e32 v116, v5, v87
	v_lshrrev_b32_e32 v117, 16, v7
	s_waitcnt lgkmcnt(22)
	v_mul_f16_e32 v118, v7, v97
	s_waitcnt vmcnt(10)
	v_lshrrev_b32_e32 v119, 16, v72
	v_mul_f16_e32 v120, v6, v86
	s_waitcnt lgkmcnt(18)
	v_mul_f16_e32 v121, v72, v101
	v_mul_f16_e32 v122, v4, v92
	;; [unrolled: 1-line block ×3, first 2 shown]
	v_fmac_f16_e32 v116, v67, v85
	v_mul_f16_e32 v85, v117, v97
	v_fmac_f16_e32 v118, v70, v117
	v_mul_f16_e32 v86, v115, v86
	;; [unrolled: 2-line block ×3, first 2 shown]
	v_mul_f16_e32 v97, v119, v101
	v_fmac_f16_e32 v121, v69, v119
	v_fmac_f16_e32 v122, v66, v84
	s_waitcnt vmcnt(9)
	v_lshrrev_b32_e32 v84, 16, v12
	v_lshrrev_b32_e32 v117, 16, v15
	v_lshrrev_b32_e32 v101, 16, v13
	v_lshrrev_b32_e32 v115, 16, v14
	v_mul_f16_e32 v119, v13, v88
	v_mul_f16_e32 v123, v15, v98
	v_fma_f16 v5, v67, v5, -v87
	s_waitcnt lgkmcnt(4)
	v_mul_f16_e32 v67, v14, v111
	v_fma_f16 v7, v70, v7, -v85
	v_mul_f16_e32 v70, v12, v93
	v_fma_f16 v4, v66, v4, -v92
	s_waitcnt vmcnt(8)
	v_lshrrev_b32_e32 v66, 16, v76
	v_fma_f16 v6, v68, v6, -v86
	v_mul_f16_e32 v68, v76, v102
	v_fma_f16 v69, v69, v72, -v97
	v_add_f16_e32 v72, v116, v118
	v_add_f16_e32 v85, v120, v121
	;; [unrolled: 1-line block ×4, first 2 shown]
	v_mul_f16_e32 v98, v117, v98
	v_mul_f16_e32 v93, v84, v93
	v_sub_f16_e32 v92, v116, v118
	v_sub_f16_e32 v97, v120, v121
	v_mul_f16_e32 v88, v101, v88
	v_fmac_f16_e32 v119, v65, v101
	v_fmac_f16_e32 v123, v64, v117
	v_mul_f16_e32 v101, v115, v111
	s_waitcnt vmcnt(7)
	v_lshrrev_b32_e32 v111, 16, v16
	v_lshrrev_b32_e32 v116, 16, v17
	;; [unrolled: 1-line block ×4, first 2 shown]
	v_fmac_f16_e32 v67, v63, v115
	v_mul_f16_e32 v115, v17, v89
	v_fmac_f16_e32 v70, v62, v84
	v_mul_f16_e32 v84, v19, v99
	v_mul_f16_e32 v102, v66, v102
	v_fmac_f16_e32 v68, v61, v66
	s_waitcnt lgkmcnt(3)
	v_mul_f16_e32 v66, v18, v112
	v_fma_f16 v72, -0.5, v72, v108
	v_fma_f16 v85, -0.5, v85, v122
	s_waitcnt vmcnt(6)
	v_lshrrev_b32_e32 v122, 16, v74
	v_add_f16_e32 v86, v118, v86
	v_mul_f16_e32 v118, v74, v94
	v_add_f16_e32 v87, v87, v121
	v_sub_f16_e32 v121, v5, v7
	v_fma_f16 v15, v64, v15, -v98
	v_sub_f16_e32 v64, v6, v69
	v_fma_f16 v12, v62, v12, -v93
	v_add_f16_e32 v62, v5, v7
	v_mul_f16_e32 v108, v16, v105
	v_fma_f16 v13, v65, v13, -v88
	v_add_f16_e32 v65, v6, v69
	v_add_f16_e32 v5, v60, v5
	v_fma_f16 v14, v63, v14, -v101
	v_mul_f16_e32 v63, v116, v89
	v_mul_f16_e32 v88, v120, v99
	;; [unrolled: 1-line block ×4, first 2 shown]
	s_waitcnt vmcnt(5)
	v_lshrrev_b32_e32 v98, 16, v8
	v_lshrrev_b32_e32 v99, 16, v9
	;; [unrolled: 1-line block ×4, first 2 shown]
	v_fma_f16 v61, v61, v76, -v102
	v_fmac_f16_e32 v115, v59, v116
	v_fmac_f16_e32 v84, v58, v120
	;; [unrolled: 1-line block ×3, first 2 shown]
	v_mul_f16_e32 v94, v122, v94
	v_fmac_f16_e32 v118, v56, v122
	v_sub_f16_e32 v117, v67, v68
	v_add_f16_e32 v120, v67, v68
	v_add_f16_e32 v122, v119, v109
	;; [unrolled: 1-line block ×3, first 2 shown]
	v_fmamk_f16 v124, v121, 0x3aee, v72
	v_fmac_f16_e32 v72, 0xbaee, v121
	v_fmamk_f16 v121, v64, 0x3aee, v85
	v_fmac_f16_e32 v85, 0xbaee, v64
	s_waitcnt vmcnt(4)
	v_lshrrev_b32_e32 v64, 16, v73
	v_fma_f16 v60, -0.5, v62, v60
	v_mul_f16_e32 v62, v73, v95
	v_add_f16_e32 v6, v4, v6
	v_mul_f16_e32 v112, v9, v90
	v_mul_f16_e32 v76, v11, v100
	s_waitcnt lgkmcnt(2)
	v_mul_f16_e32 v102, v10, v113
	v_mul_f16_e32 v116, v8, v106
	v_fmac_f16_e32 v108, v55, v111
	v_add_f16_e32 v111, v119, v123
	v_fma_f16 v65, -0.5, v65, v4
	v_add_f16_e32 v7, v5, v7
	v_sub_f16_e32 v4, v86, v87
	v_add_f16_e32 v5, v86, v87
	v_fma_f16 v17, v59, v17, -v63
	v_fma_f16 v58, v58, v19, -v88
	;; [unrolled: 1-line block ×4, first 2 shown]
	v_mul_f16_e32 v16, v99, v90
	v_mul_f16_e32 v19, v105, v100
	v_mul_f16_e32 v57, v98, v106
	v_mul_f16_e32 v59, v101, v113
	v_fma_f16 v56, v56, v74, -v94
	v_fma_f16 v70, -0.5, v120, v70
	v_sub_f16_e32 v74, v13, v15
	v_add_f16_e32 v86, v123, v122
	v_add_f16_e32 v87, v14, v61
	;; [unrolled: 1-line block ×3, first 2 shown]
	v_sub_f16_e32 v68, v14, v61
	v_add_f16_e32 v88, v13, v15
	v_add_f16_e32 v13, v50, v13
	v_mul_f16_e32 v89, v64, v95
	s_waitcnt vmcnt(3)
	v_lshrrev_b32_e32 v90, 16, v71
	v_add_f16_e32 v14, v12, v14
	v_fmac_f16_e32 v62, v51, v64
	v_add_f16_e32 v64, v115, v84
	v_add_f16_e32 v95, v66, v118
	;; [unrolled: 1-line block ×3, first 2 shown]
	v_fmac_f16_e32 v112, v54, v99
	v_fmac_f16_e32 v76, v53, v105
	;; [unrolled: 1-line block ×3, first 2 shown]
	v_fma_f16 v63, -0.5, v111, v109
	v_fmac_f16_e32 v116, v49, v98
	v_mul_f16_e32 v93, v71, v96
	v_sub_f16_e32 v94, v66, v118
	v_add_f16_e32 v98, v115, v110
	v_add_f16_e32 v66, v108, v66
	v_sub_f16_e32 v99, v115, v84
	s_waitcnt vmcnt(2)
	v_lshrrev_b32_e32 v100, 16, v0
	v_lshrrev_b32_e32 v101, 16, v1
	;; [unrolled: 1-line block ×3, first 2 shown]
	v_mul_f16_e32 v115, v0, v107
	v_fmamk_f16 v120, v97, 0xbaee, v65
	v_fmac_f16_e32 v65, 0x3aee, v97
	v_fmamk_f16 v97, v92, 0xbaee, v60
	v_fmac_f16_e32 v60, 0x3aee, v92
	v_mul_f16_e32 v92, 0x3aee, v85
	v_fma_f16 v9, v54, v9, -v16
	v_fma_f16 v11, v53, v11, -v19
	;; [unrolled: 1-line block ×5, first 2 shown]
	v_mul_f16_e32 v19, v90, v96
	v_fma_f16 v52, -0.5, v87, v12
	v_fmamk_f16 v59, v68, 0x3aee, v70
	v_fmac_f16_e32 v70, 0xbaee, v68
	v_add_f16_e32 v13, v13, v15
	v_add_f16_e32 v14, v14, v61
	v_sub_f16_e32 v12, v86, v67
	v_add_f16_e32 v16, v86, v67
	v_fma_f16 v61, -0.5, v64, v110
	v_fma_f16 v64, -0.5, v95, v108
	v_add_f16_e32 v67, v18, v56
	v_sub_f16_e32 v73, v18, v56
	v_add_f16_e32 v18, v55, v18
	v_sub_f16_e32 v119, v119, v123
	v_mul_f16_e32 v109, v1, v91
	s_waitcnt lgkmcnt(1)
	v_mul_f16_e32 v113, v2, v114
	v_sub_f16_e32 v6, v7, v69
	v_add_f16_e32 v7, v7, v69
	v_mul_f16_e32 v69, -0.5, v121
	v_fmac_f16_e32 v93, v48, v90
	v_fmamk_f16 v57, v74, 0x3aee, v63
	v_fmac_f16_e32 v63, 0xbaee, v74
	v_fma_f16 v50, -0.5, v88, v50
	v_add_f16_e32 v51, v84, v98
	v_add_f16_e32 v54, v66, v118
	v_sub_f16_e32 v49, v17, v58
	v_mul_f16_e32 v66, v101, v91
	v_mul_f16_e32 v68, v105, v114
	;; [unrolled: 1-line block ×3, first 2 shown]
	v_fmac_f16_e32 v115, v42, v100
	v_add_f16_e32 v84, v17, v58
	v_add_f16_e32 v17, v46, v17
	;; [unrolled: 1-line block ×5, first 2 shown]
	v_fmac_f16_e32 v92, 0.5, v65
	v_fma_f16 v71, v48, v71, -v19
	v_fmamk_f16 v48, v117, 0xbaee, v52
	v_fmac_f16_e32 v52, 0x3aee, v117
	v_sub_f16_e32 v15, v13, v14
	v_add_f16_e32 v19, v13, v14
	v_fma_f16 v55, -0.5, v67, v55
	v_fmamk_f16 v100, v73, 0x3aee, v64
	v_fmac_f16_e32 v64, 0xbaee, v73
	v_add_f16_e32 v14, v18, v56
	v_mul_f16_e32 v56, 0x3aee, v70
	v_add_f16_e32 v18, v8, v10
	v_fmac_f16_e32 v109, v47, v101
	v_fmac_f16_e32 v113, v45, v105
	v_sub_f16_e32 v89, v102, v62
	v_add_f16_e32 v90, v112, v103
	v_fmac_f16_e32 v69, 0xbaee, v120
	v_fmamk_f16 v98, v119, 0xbaee, v50
	v_fmac_f16_e32 v50, 0x3aee, v119
	v_fma_f16 v73, -0.5, v84, v46
	v_add_f16_e32 v13, v17, v58
	v_fma_f16 v84, -0.5, v87, v116
	v_fma_f16 v86, -0.5, v86, v103
	v_mul_f16_e32 v46, -0.5, v59
	v_add_f16_e32 v87, v88, v62
	v_fma_f16 v88, v47, v1, -v66
	v_sub_f16_e32 v17, v9, v11
	v_fma_f16 v68, v45, v2, -v68
	v_sub_f16_e32 v45, v8, v10
	v_add_f16_e32 v47, v9, v11
	v_add_f16_e32 v62, v44, v9
	v_add_f16_e32 v66, v53, v8
	v_sub_f16_e32 v2, v60, v92
	v_add_f16_e32 v9, v60, v92
	v_fmamk_f16 v60, v94, 0xbaee, v55
	v_fmac_f16_e32 v55, 0x3aee, v94
	v_fma_f16 v53, -0.5, v18, v53
	v_fmac_f16_e32 v56, 0.5, v52
	v_mul_f16_e32 v103, 0x3aee, v64
	v_lshrrev_b32_e32 v106, 16, v3
	v_sub_f16_e32 v1, v124, v69
	v_add_f16_e32 v8, v124, v69
	v_fmamk_f16 v69, v99, 0xbaee, v73
	v_fmac_f16_e32 v73, 0x3aee, v99
	v_fmamk_f16 v92, v45, 0x3aee, v84
	v_fmac_f16_e32 v46, 0xbaee, v48
	v_mul_f16_e32 v52, 0xbaee, v52
	v_mul_f16_e32 v94, -0.5, v48
	v_mul_f16_e32 v101, -0.5, v100
	v_sub_f16_e32 v18, v50, v56
	v_add_f16_e32 v48, v50, v56
	v_fmac_f16_e32 v103, 0.5, v55
	v_fmamk_f16 v56, v89, 0xbaee, v53
	v_fmac_f16_e32 v53, 0x3aee, v89
	v_mul_f16_e32 v111, v3, v104
	v_mul_f16_e32 v95, v106, v104
	;; [unrolled: 1-line block ×3, first 2 shown]
	v_fmac_f16_e32 v84, 0xbaee, v45
	v_add_f16_e32 v104, v66, v10
	v_fmac_f16_e32 v52, 0.5, v70
	v_fmac_f16_e32 v94, 0x3aee, v59
	v_fmac_f16_e32 v101, 0xbaee, v60
	v_mul_f16_e32 v59, 0xbaee, v55
	v_mul_f16_e32 v66, -0.5, v60
	v_mul_f16_e32 v70, -0.5, v92
	v_sub_f16_e32 v55, v73, v103
	v_add_f16_e32 v60, v73, v103
	v_mul_f16_e32 v73, 0xbaee, v53
	v_fma_f16 v0, v42, v0, -v74
	v_add_f16_e32 v42, v68, v71
	v_sub_f16_e32 v91, v112, v76
	v_fmamk_f16 v67, v49, 0x3aee, v61
	v_fmac_f16_e32 v61, 0xbaee, v49
	v_add_f16_e32 v76, v76, v90
	v_add_f16_e32 v90, v113, v93
	v_fmac_f16_e32 v65, 0.5, v85
	v_fmamk_f16 v85, v17, 0x3aee, v86
	v_fma_f16 v99, -0.5, v47, v44
	v_mul_f16_e32 v89, 0x3aee, v84
	v_fmac_f16_e32 v59, 0.5, v64
	v_fmac_f16_e32 v66, 0x3aee, v100
	v_fmac_f16_e32 v70, 0xbaee, v56
	v_fmac_f16_e32 v73, 0.5, v84
	v_fma_f16 v3, v43, v3, -v95
	v_fma_f16 v42, -0.5, v42, v0
	v_sub_f16_e32 v84, v113, v93
	v_sub_f16_e32 v49, v51, v54
	v_add_f16_e32 v54, v51, v54
	v_sub_f16_e32 v51, v13, v14
	v_add_f16_e32 v58, v13, v14
	v_add_f16_e32 v102, v62, v11
	v_sub_f16_e32 v11, v72, v65
	v_add_f16_e32 v14, v72, v65
	v_fmamk_f16 v72, v91, 0xbaee, v99
	v_fmac_f16_e32 v99, 0x3aee, v91
	v_sub_f16_e32 v45, v63, v52
	v_add_f16_e32 v50, v63, v52
	v_sub_f16_e32 v44, v98, v94
	v_add_f16_e32 v47, v98, v94
	v_mul_f16_e32 v91, -0.5, v56
	v_fmac_f16_e32 v89, 0.5, v53
	v_sub_f16_e32 v56, v61, v59
	v_add_f16_e32 v61, v61, v59
	v_sub_f16_e32 v53, v69, v66
	v_add_f16_e32 v59, v69, v66
	;; [unrolled: 2-line block ×3, first 2 shown]
	v_fmac_f16_e32 v111, v43, v106
	v_sub_f16_e32 v70, v68, v71
	v_fma_f16 v74, -0.5, v90, v115
	v_fmamk_f16 v90, v84, 0xbaee, v42
	v_fmac_f16_e32 v42, 0x3aee, v84
	v_add_f16_e32 v94, v88, v3
	v_fmac_f16_e32 v86, 0xbaee, v17
	v_add_f16_e32 v43, v109, v111
	v_fmamk_f16 v85, v70, 0x3aee, v74
	v_fmac_f16_e32 v74, 0xbaee, v70
	v_mul_f16_e32 v70, 0xbaee, v42
	v_fma_f16 v94, -0.5, v94, v41
	v_add_f16_e32 v41, v41, v88
	v_sub_f16_e32 v17, v57, v46
	v_add_f16_e32 v46, v57, v46
	v_sub_f16_e32 v52, v67, v101
	v_add_f16_e32 v57, v67, v101
	v_fmac_f16_e32 v91, 0x3aee, v92
	v_sub_f16_e32 v67, v86, v73
	v_add_f16_e32 v73, v86, v73
	v_sub_f16_e32 v86, v88, v3
	v_fma_f16 v43, -0.5, v43, v83
	v_mul_f16_e32 v92, -0.5, v85
	v_fmac_f16_e32 v70, 0.5, v74
	v_mul_f16_e32 v74, 0x3aee, v74
	v_add_f16_e32 v3, v41, v3
	s_waitcnt vmcnt(1)
	v_lshrrev_b32_e32 v41, 16, v21
	v_fmamk_f16 v84, v86, 0x3aee, v43
	v_fmac_f16_e32 v92, 0xbaee, v90
	v_fmac_f16_e32 v43, 0xbaee, v86
	v_add_f16_e32 v83, v109, v83
	v_add_f16_e32 v86, v115, v113
	v_fmac_f16_e32 v74, 0.5, v42
	v_mul_f16_e32 v42, v41, v78
	v_mul_f16_e32 v78, v21, v78
	v_mul_f16_e32 v96, -0.5, v120
	v_sub_f16_e32 v64, v72, v91
	v_add_f16_e32 v72, v72, v91
	v_sub_f16_e32 v91, v84, v92
	v_sub_f16_e32 v95, v109, v111
	v_add_f16_e32 v83, v111, v83
	v_add_f16_e32 v86, v86, v93
	;; [unrolled: 1-line block ×3, first 2 shown]
	v_lshrrev_b32_e32 v92, 16, v22
	v_fma_f16 v21, v40, v21, -v42
	v_fmac_f16_e32 v78, v40, v41
	s_waitcnt vmcnt(0)
	v_lshrrev_b32_e32 v40, 16, v81
	v_fmac_f16_e32 v96, 0x3aee, v121
	v_fmamk_f16 v93, v95, 0xbaee, v94
	v_add_f16_e32 v0, v0, v68
	v_fmac_f16_e32 v94, 0x3aee, v95
	v_sub_f16_e32 v68, v83, v86
	v_add_f16_e32 v83, v83, v86
	v_lshrrev_b32_e32 v86, 16, v20
	s_waitcnt lgkmcnt(0)
	v_mul_f16_e32 v41, v22, v82
	v_mul_f16_e32 v95, v81, v77
	;; [unrolled: 1-line block ×4, first 2 shown]
	v_sub_f16_e32 v10, v97, v96
	v_add_f16_e32 v13, v97, v96
	v_sub_f16_e32 v96, v43, v70
	v_add_f16_e32 v70, v43, v70
	v_lshrrev_b32_e32 v43, 16, v23
	v_fmac_f16_e32 v41, v36, v92
	v_mul_f16_e32 v92, v20, v79
	v_fmac_f16_e32 v95, v39, v40
	v_mul_f16_e32 v40, v86, v79
	v_fma_f16 v22, v36, v22, -v82
	v_fma_f16 v36, v39, v81, -v77
	v_mul_f16_e32 v42, v43, v80
	v_mul_f16_e32 v80, v23, v80
	v_fmac_f16_e32 v92, v37, v86
	v_fma_f16 v37, v37, v20, -v40
	v_add_f16_e32 v20, v22, v36
	v_add_f16_e32 v0, v0, v71
	v_fmac_f16_e32 v80, v38, v43
	v_fma_f16 v23, v38, v23, -v42
	v_add_f16_e32 v39, v41, v95
	v_fma_f16 v42, -0.5, v20, v37
	v_sub_f16_e32 v20, v41, v95
	v_sub_f16_e32 v88, v3, v0
	v_add_f16_e32 v38, v78, v80
	v_add_f16_e32 v86, v3, v0
	;; [unrolled: 1-line block ×3, first 2 shown]
	v_fmamk_f16 v81, v20, 0xbaee, v42
	v_fmac_f16_e32 v42, 0x3aee, v20
	v_add_f16_e32 v20, v92, v41
	v_add_f16_e32 v41, v21, v23
	v_sub_f16_e32 v40, v22, v36
	v_fma_f16 v39, -0.5, v39, v92
	v_sub_f16_e32 v79, v21, v23
	v_fma_f16 v38, -0.5, v38, v75
	v_add_f16_e32 v75, v80, v0
	v_fma_f16 v41, -0.5, v41, v35
	v_sub_f16_e32 v0, v78, v80
	v_fmamk_f16 v43, v40, 0x3aee, v39
	v_fmac_f16_e32 v39, 0xbaee, v40
	v_mul_f16_e32 v40, 0xbaee, v42
	v_fmamk_f16 v3, v79, 0x3aee, v38
	v_fmac_f16_e32 v38, 0xbaee, v79
	v_add_f16_e32 v79, v20, v95
	v_fmamk_f16 v92, v0, 0xbaee, v41
	v_fmac_f16_e32 v41, 0x3aee, v0
	v_add_f16_e32 v0, v35, v21
	v_mad_u64_u32 v[20:21], null, s2, v26, 0
	v_mul_f16_e32 v78, -0.5, v81
	v_fmac_f16_e32 v40, 0.5, v39
	v_mul_f16_e32 v39, 0x3aee, v39
	v_mul_f16_e32 v90, -0.5, v90
	v_mul_f16_e32 v82, -0.5, v43
	v_fmac_f16_e32 v78, 0x3aee, v43
	v_add_f16_e32 v22, v37, v22
	v_add_nc_u32_e32 v43, 0x168, v26
	v_fmac_f16_e32 v39, 0.5, v42
	v_add_f16_e32 v42, v0, v23
	v_mov_b32_e32 v0, v21
	v_add_nc_u32_e32 v98, 0x2d0, v26
	v_fmac_f16_e32 v90, 0x3aee, v85
	v_sub_f16_e32 v85, v94, v74
	v_add_f16_e32 v74, v94, v74
	v_add_f16_e32 v94, v22, v36
	v_mad_u64_u32 v[22:23], null, s2, v43, 0
	v_mad_u64_u32 v[35:36], null, s3, v26, v[0:1]
	;; [unrolled: 1-line block ×3, first 2 shown]
	v_fmac_f16_e32 v82, 0xbaee, v81
	v_sub_f16_e32 v81, v38, v40
	v_mov_b32_e32 v0, v23
	v_sub_f16_e32 v95, v41, v39
	v_mov_b32_e32 v21, v35
	v_add_f16_e32 v40, v38, v40
	v_mov_b32_e32 v35, v37
	v_add_f16_e32 v41, v41, v39
	v_mad_u64_u32 v[38:39], null, s3, v43, v[0:1]
	v_add_co_u32 v0, vcc_lo, s12, v24
	v_sub_f16_e32 v80, v3, v82
	v_add_f16_e32 v82, v3, v82
	v_add_co_ci_u32_e32 v3, vcc_lo, s13, v25, vcc_lo
	v_mad_u64_u32 v[24:25], null, s3, v98, v[35:36]
	v_sub_f16_e32 v71, v93, v90
	v_add_f16_e32 v77, v93, v90
	v_sub_f16_e32 v90, v75, v79
	v_add_f16_e32 v75, v75, v79
	v_add_f16_e32 v39, v42, v94
	v_mov_b32_e32 v23, v38
	v_mov_b32_e32 v37, v24
	v_sub_f16_e32 v97, v42, v94
	v_lshlrev_b64 v[20:21], 2, v[20:21]
	v_pack_b32_f16 v75, v39, v75
	v_mad_u64_u32 v[38:39], null, s2, v31, 0
	v_add_nc_u32_e32 v42, 0x5a0, v26
	v_lshlrev_b64 v[36:37], 2, v[36:37]
	v_sub_f16_e32 v93, v92, v78
	v_add_f16_e32 v78, v92, v78
	v_lshlrev_b64 v[22:23], 2, v[22:23]
	v_add_nc_u32_e32 v92, 0x708, v26
	v_mov_b32_e32 v35, v39
	v_mad_u64_u32 v[24:25], null, s2, v42, 0
	v_add_co_u32 v20, vcc_lo, v0, v20
	v_pack_b32_f16 v79, v41, v40
	v_mad_u64_u32 v[39:40], null, s3, v31, v[35:36]
	v_add_co_ci_u32_e32 v21, vcc_lo, v3, v21, vcc_lo
	v_mad_u64_u32 v[40:41], null, s2, v92, 0
	v_add_co_u32 v22, vcc_lo, v0, v22
	v_add_co_ci_u32_e32 v23, vcc_lo, v3, v23, vcc_lo
	v_mad_u64_u32 v[42:43], null, s3, v42, v[25:26]
	v_add_co_u32 v35, vcc_lo, v0, v36
	global_store_dword v[20:21], v75, off
	global_store_dword v[22:23], v79, off
	v_lshlrev_b64 v[21:22], 2, v[38:39]
	v_add_co_ci_u32_e32 v36, vcc_lo, v3, v37, vcc_lo
	v_pack_b32_f16 v25, v78, v82
	v_mov_b32_e32 v20, v41
	v_add_nc_u32_e32 v78, 0x30c, v26
	v_pack_b32_f16 v43, v97, v90
	v_pack_b32_f16 v75, v95, v81
	global_store_dword v[35:36], v25, off
	v_mov_b32_e32 v25, v42
	v_mad_u64_u32 v[35:36], null, s3, v92, v[20:21]
	v_add_co_u32 v20, vcc_lo, v0, v21
	v_add_nc_u32_e32 v42, 0x1a4, v26
	v_add_co_ci_u32_e32 v21, vcc_lo, v3, v22, vcc_lo
	v_lshlrev_b64 v[22:23], 2, v[24:25]
	v_mad_u64_u32 v[24:25], null, s2, v30, 0
	v_mov_b32_e32 v41, v35
	v_mad_u64_u32 v[35:36], null, s2, v42, 0
	v_add_co_u32 v22, vcc_lo, v0, v22
	v_lshlrev_b64 v[37:38], 2, v[40:41]
	v_mad_u64_u32 v[30:31], null, s3, v30, v[25:26]
	v_mad_u64_u32 v[39:40], null, s2, v78, 0
	v_mov_b32_e32 v25, v36
	v_add_co_ci_u32_e32 v23, vcc_lo, v3, v23, vcc_lo
	global_store_dword v[20:21], v43, off
	global_store_dword v[22:23], v75, off
	v_mad_u64_u32 v[41:42], null, s3, v42, v[25:26]
	v_mov_b32_e32 v25, v30
	v_add_co_u32 v36, vcc_lo, v0, v37
	v_mov_b32_e32 v20, v40
	v_add_co_ci_u32_e32 v37, vcc_lo, v3, v38, vcc_lo
	v_lshlrev_b64 v[21:22], 2, v[24:25]
	v_pack_b32_f16 v30, v93, v80
	v_pack_b32_f16 v43, v74, v70
	v_add_nc_u32_e32 v70, 0x744, v26
	v_pack_b32_f16 v42, v86, v83
	v_sub_f16_e32 v62, v76, v87
	v_mad_u64_u32 v[23:24], null, s3, v78, v[20:21]
	global_store_dword v[36:37], v30, off
	v_mov_b32_e32 v36, v41
	v_add_nc_u32_e32 v41, 0x5dc, v26
	v_mad_u64_u32 v[30:31], null, s2, v29, 0
	v_add_co_u32 v20, vcc_lo, v0, v21
	v_lshlrev_b64 v[24:25], 2, v[35:36]
	v_mov_b32_e32 v40, v23
	v_add_co_ci_u32_e32 v21, vcc_lo, v3, v22, vcc_lo
	v_mad_u64_u32 v[22:23], null, s2, v41, 0
	v_add_co_u32 v24, vcc_lo, v0, v24
	v_lshlrev_b64 v[35:36], 2, v[39:40]
	v_mad_u64_u32 v[37:38], null, s3, v29, v[31:32]
	v_mad_u64_u32 v[38:39], null, s2, v70, 0
	v_add_co_ci_u32_e32 v25, vcc_lo, v3, v25, vcc_lo
	v_mad_u64_u32 v[40:41], null, s3, v41, v[23:24]
	v_add_co_u32 v35, vcc_lo, v0, v35
	v_add_co_ci_u32_e32 v36, vcc_lo, v3, v36, vcc_lo
	v_pack_b32_f16 v23, v77, v84
	v_mov_b32_e32 v31, v37
	global_store_dword v[20:21], v42, off
	global_store_dword v[24:25], v43, off
	v_mov_b32_e32 v20, v39
	v_add_nc_u32_e32 v41, 0x1e0, v26
	global_store_dword v[35:36], v23, off
	v_mov_b32_e32 v23, v40
	v_lshlrev_b64 v[24:25], 2, v[30:31]
	v_mad_u64_u32 v[20:21], null, s3, v70, v[20:21]
	v_mad_u64_u32 v[29:30], null, s2, v28, 0
	v_lshlrev_b64 v[21:22], 2, v[22:23]
	v_add_co_u32 v24, vcc_lo, v0, v24
	v_add_co_ci_u32_e32 v25, vcc_lo, v3, v25, vcc_lo
	v_mov_b32_e32 v39, v20
	v_add_co_u32 v20, vcc_lo, v0, v21
	v_add_co_ci_u32_e32 v21, vcc_lo, v3, v22, vcc_lo
	v_mov_b32_e32 v22, v30
	v_mad_u64_u32 v[35:36], null, s2, v41, 0
	v_add_nc_u32_e32 v70, 0x348, v26
	v_lshlrev_b64 v[30:31], 2, v[38:39]
	v_mad_u64_u32 v[22:23], null, s3, v28, v[22:23]
	v_pack_b32_f16 v43, v88, v68
	v_mad_u64_u32 v[37:38], null, s2, v70, 0
	v_add_co_u32 v39, vcc_lo, v0, v30
	v_pack_b32_f16 v68, v85, v96
	v_mov_b32_e32 v30, v22
	v_mov_b32_e32 v23, v36
	global_store_dword v[24:25], v43, off
	global_store_dword v[20:21], v68, off
	v_add_co_ci_u32_e32 v40, vcc_lo, v3, v31, vcc_lo
	v_lshlrev_b64 v[21:22], 2, v[29:30]
	v_mad_u64_u32 v[41:42], null, s3, v41, v[23:24]
	v_pack_b32_f16 v23, v71, v91
	v_mov_b32_e32 v20, v38
	v_mad_u64_u32 v[28:29], null, s2, v27, 0
	v_or_b32_e32 v42, 0x780, v26
	global_store_dword v[39:40], v23, off
	v_mad_u64_u32 v[23:24], null, s3, v70, v[20:21]
	v_mov_b32_e32 v36, v41
	v_add_nc_u32_e32 v39, 0x618, v26
	v_add_co_u32 v20, vcc_lo, v0, v21
	v_add_co_ci_u32_e32 v21, vcc_lo, v3, v22, vcc_lo
	v_mov_b32_e32 v38, v23
	v_lshlrev_b64 v[24:25], 2, v[35:36]
	v_mad_u64_u32 v[22:23], null, s2, v39, 0
	v_sub_f16_e32 v66, v99, v89
	v_lshlrev_b64 v[30:31], 2, v[37:38]
	v_add_f16_e32 v76, v76, v87
	v_add_co_u32 v24, vcc_lo, v0, v24
	v_add_f16_e32 v87, v99, v89
	v_add_f16_e32 v89, v102, v104
	v_mad_u64_u32 v[35:36], null, s3, v27, v[29:30]
	v_mad_u64_u32 v[36:37], null, s2, v42, 0
	v_add_co_ci_u32_e32 v25, vcc_lo, v3, v25, vcc_lo
	v_mad_u64_u32 v[38:39], null, s3, v39, v[23:24]
	v_pack_b32_f16 v40, v89, v76
	v_add_co_u32 v30, vcc_lo, v0, v30
	v_pack_b32_f16 v41, v87, v73
	v_add_co_ci_u32_e32 v31, vcc_lo, v3, v31, vcc_lo
	v_pack_b32_f16 v23, v72, v69
	v_mov_b32_e32 v29, v35
	global_store_dword v[20:21], v40, off
	global_store_dword v[24:25], v41, off
	v_mov_b32_e32 v20, v37
	v_sub_f16_e32 v65, v102, v104
	global_store_dword v[30:31], v23, off
	v_mov_b32_e32 v23, v38
	v_lshlrev_b64 v[24:25], 2, v[28:29]
	v_mad_u64_u32 v[20:21], null, s3, v42, v[20:21]
	v_mad_u64_u32 v[27:28], null, s2, v32, 0
	v_add_nc_u32_e32 v38, 0x21c, v26
	v_lshlrev_b64 v[21:22], 2, v[22:23]
	v_add_co_u32 v24, vcc_lo, v0, v24
	v_add_co_ci_u32_e32 v25, vcc_lo, v3, v25, vcc_lo
	v_mad_u64_u32 v[29:30], null, s2, v38, 0
	v_mov_b32_e32 v37, v20
	v_mov_b32_e32 v20, v28
	v_add_co_u32 v21, vcc_lo, v0, v21
	v_add_co_ci_u32_e32 v22, vcc_lo, v3, v22, vcc_lo
	v_lshlrev_b64 v[35:36], 2, v[36:37]
	v_mad_u64_u32 v[31:32], null, s3, v32, v[20:21]
	v_mov_b32_e32 v20, v30
	v_pack_b32_f16 v39, v65, v62
	v_pack_b32_f16 v30, v64, v63
	v_add_co_u32 v35, vcc_lo, v0, v35
	v_mad_u64_u32 v[37:38], null, s3, v38, v[20:21]
	v_add_co_ci_u32_e32 v36, vcc_lo, v3, v36, vcc_lo
	v_pack_b32_f16 v23, v66, v67
	v_mov_b32_e32 v28, v31
	global_store_dword v[24:25], v39, off
	global_store_dword v[21:22], v23, off
	;; [unrolled: 1-line block ×3, first 2 shown]
	v_mov_b32_e32 v30, v37
	v_lshlrev_b64 v[20:21], 2, v[27:28]
	v_add_nc_u32_e32 v31, 0x384, v26
	v_add_nc_u32_e32 v32, 0x4ec, v26
	;; [unrolled: 1-line block ×3, first 2 shown]
	v_lshlrev_b64 v[24:25], 2, v[29:30]
	v_pack_b32_f16 v37, v58, v54
	v_mad_u64_u32 v[22:23], null, s2, v31, 0
	v_add_co_u32 v20, vcc_lo, v0, v20
	v_add_co_ci_u32_e32 v21, vcc_lo, v3, v21, vcc_lo
	v_mad_u64_u32 v[27:28], null, s2, v32, 0
	v_add_co_u32 v24, vcc_lo, v0, v24
	v_add_co_ci_u32_e32 v25, vcc_lo, v3, v25, vcc_lo
	v_pack_b32_f16 v40, v55, v56
	v_mad_u64_u32 v[29:30], null, s3, v31, v[23:24]
	v_mov_b32_e32 v23, v28
	v_mad_u64_u32 v[30:31], null, s2, v38, 0
	v_pack_b32_f16 v28, v60, v61
	global_store_dword v[20:21], v37, off
	global_store_dword v[24:25], v28, off
	v_mad_u64_u32 v[35:36], null, s3, v32, v[23:24]
	v_lshrrev_b32_e32 v32, 3, v34
	v_mov_b32_e32 v23, v29
	v_mov_b32_e32 v20, v31
	v_pack_b32_f16 v36, v59, v57
	v_pack_b32_f16 v16, v19, v16
	v_mul_hi_u32 v29, 0x16c16c17, v32
	v_lshlrev_b64 v[21:22], 2, v[22:23]
	v_add_nc_u32_e32 v32, 0x7bc, v26
	v_mov_b32_e32 v28, v35
	v_pack_b32_f16 v7, v7, v5
	v_pack_b32_f16 v9, v9, v14
	;; [unrolled: 1-line block ×3, first 2 shown]
	v_mad_u64_u32 v[23:24], null, s3, v38, v[20:21]
	v_lshrrev_b32_e32 v26, 2, v29
	v_mad_u64_u32 v[24:25], null, s2, v32, 0
	v_add_co_u32 v20, vcc_lo, v0, v21
	v_mad_u32_u24 v37, 0x708, v26, v34
	v_mov_b32_e32 v31, v23
	v_lshlrev_b64 v[26:27], 2, v[27:28]
	v_add_co_ci_u32_e32 v21, vcc_lo, v3, v22, vcc_lo
	v_mov_b32_e32 v22, v25
	v_mad_u64_u32 v[28:29], null, s2, v37, 0
	v_lshlrev_b64 v[30:31], 2, v[30:31]
	v_add_co_u32 v26, vcc_lo, v0, v26
	v_mad_u64_u32 v[22:23], null, s3, v32, v[22:23]
	v_add_co_ci_u32_e32 v27, vcc_lo, v3, v27, vcc_lo
	v_mov_b32_e32 v23, v29
	v_add_co_u32 v29, vcc_lo, v0, v30
	v_add_nc_u32_e32 v39, 0x168, v37
	v_pack_b32_f16 v38, v51, v49
	v_add_co_ci_u32_e32 v30, vcc_lo, v3, v31, vcc_lo
	v_mad_u64_u32 v[31:32], null, s3, v37, v[23:24]
	v_mad_u64_u32 v[34:35], null, s2, v39, 0
	v_mov_b32_e32 v25, v22
	global_store_dword v[20:21], v36, off
	global_store_dword v[26:27], v38, off
	;; [unrolled: 1-line block ×3, first 2 shown]
	v_add_nc_u32_e32 v30, 0x2d0, v37
	v_mov_b32_e32 v29, v31
	v_lshlrev_b64 v[20:21], 2, v[24:25]
	v_mov_b32_e32 v22, v35
	v_mad_u64_u32 v[23:24], null, s2, v30, 0
	v_lshlrev_b64 v[25:26], 2, v[28:29]
	v_add_co_u32 v20, vcc_lo, v0, v20
	v_add_co_ci_u32_e32 v21, vcc_lo, v3, v21, vcc_lo
	v_mad_u64_u32 v[27:28], null, s3, v39, v[22:23]
	v_mov_b32_e32 v22, v24
	v_add_co_u32 v24, vcc_lo, v0, v25
	v_add_co_ci_u32_e32 v25, vcc_lo, v3, v26, vcc_lo
	v_pack_b32_f16 v28, v53, v52
	v_mov_b32_e32 v35, v27
	v_mad_u64_u32 v[26:27], null, s3, v30, v[22:23]
	v_add_nc_u32_e32 v27, 0x438, v37
	global_store_dword v[20:21], v28, off
	v_add_nc_u32_e32 v30, 0x5a0, v37
	global_store_dword v[24:25], v16, off
	v_lshlrev_b64 v[19:20], 2, v[34:35]
	v_mad_u64_u32 v[21:22], null, s2, v27, 0
	v_mov_b32_e32 v24, v26
	v_mad_u64_u32 v[25:26], null, s2, v30, 0
	v_add_co_u32 v19, vcc_lo, v0, v19
	v_add_co_ci_u32_e32 v20, vcc_lo, v3, v20, vcc_lo
	v_mov_b32_e32 v16, v22
	v_lshlrev_b64 v[22:23], 2, v[23:24]
	v_add_nc_u32_e32 v24, 0x708, v37
	v_pack_b32_f16 v34, v48, v50
	v_pack_b32_f16 v35, v47, v46
	v_mad_u64_u32 v[27:28], null, s3, v27, v[16:17]
	v_mov_b32_e32 v16, v26
	v_lshrrev_b32_e32 v26, 3, v33
	v_mad_u64_u32 v[28:29], null, s2, v24, 0
	global_store_dword v[19:20], v34, off
	v_mad_u64_u32 v[30:31], null, s3, v30, v[16:17]
	v_mul_hi_u32 v26, 0x16c16c17, v26
	v_add_co_u32 v31, vcc_lo, v0, v22
	v_mov_b32_e32 v22, v27
	v_mov_b32_e32 v16, v29
	v_add_co_ci_u32_e32 v32, vcc_lo, v3, v23, vcc_lo
	v_lshrrev_b32_e32 v27, 2, v26
	v_mov_b32_e32 v26, v30
	v_mad_u64_u32 v[23:24], null, s3, v24, v[16:17]
	v_lshlrev_b64 v[19:20], 2, v[21:22]
	v_mad_u32_u24 v27, 0x708, v27, v33
	v_lshlrev_b64 v[21:22], 2, v[25:26]
	global_store_dword v[31:32], v35, off
	v_pack_b32_f16 v17, v44, v17
	v_mad_u64_u32 v[24:25], null, s2, v27, 0
	v_mov_b32_e32 v29, v23
	v_add_co_u32 v19, vcc_lo, v0, v19
	v_pack_b32_f16 v23, v15, v12
	v_add_co_ci_u32_e32 v20, vcc_lo, v3, v20, vcc_lo
	v_mov_b32_e32 v12, v25
	v_lshlrev_b64 v[15:16], 2, v[28:29]
	v_add_co_u32 v21, vcc_lo, v0, v21
	v_add_co_ci_u32_e32 v22, vcc_lo, v3, v22, vcc_lo
	v_mad_u64_u32 v[25:26], null, s3, v27, v[12:13]
	v_pack_b32_f16 v12, v18, v45
	v_add_co_u32 v15, vcc_lo, v0, v15
	v_add_co_ci_u32_e32 v16, vcc_lo, v3, v16, vcc_lo
	global_store_dword v[19:20], v23, off
	global_store_dword v[21:22], v12, off
	v_add_nc_u32_e32 v23, 0x168, v27
	v_add_nc_u32_e32 v26, 0x2d0, v27
	global_store_dword v[15:16], v17, off
	v_lshlrev_b64 v[15:16], 2, v[24:25]
	v_add_nc_u32_e32 v28, 0x438, v27
	v_mad_u64_u32 v[17:18], null, s2, v23, 0
	v_mad_u64_u32 v[19:20], null, s2, v26, 0
	v_add_co_u32 v15, vcc_lo, v0, v15
	v_add_co_ci_u32_e32 v16, vcc_lo, v3, v16, vcc_lo
	v_mov_b32_e32 v12, v18
	v_mad_u64_u32 v[21:22], null, s2, v28, 0
	v_mov_b32_e32 v18, v20
	global_store_dword v[15:16], v7, off
	v_mad_u64_u32 v[23:24], null, s3, v23, v[12:13]
	v_add_nc_u32_e32 v12, 0x5a0, v27
	v_mad_u64_u32 v[24:25], null, s3, v26, v[18:19]
	v_add_nc_u32_e32 v7, 0x708, v27
	v_mov_b32_e32 v5, v22
	v_mad_u64_u32 v[25:26], null, s2, v12, 0
	v_mov_b32_e32 v18, v23
	v_mad_u64_u32 v[22:23], null, s3, v28, v[5:6]
	v_mov_b32_e32 v20, v24
	v_lshlrev_b64 v[15:16], 2, v[17:18]
	v_mad_u64_u32 v[17:18], null, s2, v7, 0
	v_mov_b32_e32 v5, v26
	v_add_co_u32 v15, vcc_lo, v0, v15
	v_mad_u64_u32 v[23:24], null, s3, v12, v[5:6]
	v_mov_b32_e32 v5, v18
	v_lshlrev_b64 v[18:19], 2, v[19:20]
	v_add_co_ci_u32_e32 v16, vcc_lo, v3, v16, vcc_lo
	v_lshlrev_b64 v[20:21], 2, v[21:22]
	v_mad_u64_u32 v[27:28], null, s3, v7, v[5:6]
	v_mov_b32_e32 v26, v23
	v_add_co_u32 v22, vcc_lo, v0, v18
	v_add_co_ci_u32_e32 v23, vcc_lo, v3, v19, vcc_lo
	v_lshlrev_b64 v[7:8], 2, v[25:26]
	v_mov_b32_e32 v18, v27
	v_add_co_u32 v12, vcc_lo, v0, v20
	v_pack_b32_f16 v19, v6, v4
	v_add_co_ci_u32_e32 v13, vcc_lo, v3, v21, vcc_lo
	v_lshlrev_b64 v[4:5], 2, v[17:18]
	v_add_co_u32 v6, vcc_lo, v0, v7
	v_add_co_ci_u32_e32 v7, vcc_lo, v3, v8, vcc_lo
	v_pack_b32_f16 v8, v2, v11
	v_add_co_u32 v2, vcc_lo, v0, v4
	v_add_co_ci_u32_e32 v3, vcc_lo, v3, v5, vcc_lo
	v_pack_b32_f16 v0, v10, v1
	global_store_dword v[15:16], v9, off
	global_store_dword v[22:23], v14, off
	;; [unrolled: 1-line block ×5, first 2 shown]
.LBB0_21:
	s_endpgm
	.section	.rodata,"a",@progbits
	.p2align	6, 0x0
	.amdhsa_kernel fft_rtc_fwd_len2160_factors_10_6_6_6_wgs_60_tpt_60_halfLds_half_ip_CI_sbrr_dirReg
		.amdhsa_group_segment_fixed_size 0
		.amdhsa_private_segment_fixed_size 0
		.amdhsa_kernarg_size 88
		.amdhsa_user_sgpr_count 6
		.amdhsa_user_sgpr_private_segment_buffer 1
		.amdhsa_user_sgpr_dispatch_ptr 0
		.amdhsa_user_sgpr_queue_ptr 0
		.amdhsa_user_sgpr_kernarg_segment_ptr 1
		.amdhsa_user_sgpr_dispatch_id 0
		.amdhsa_user_sgpr_flat_scratch_init 0
		.amdhsa_user_sgpr_private_segment_size 0
		.amdhsa_wavefront_size32 1
		.amdhsa_uses_dynamic_stack 0
		.amdhsa_system_sgpr_private_segment_wavefront_offset 0
		.amdhsa_system_sgpr_workgroup_id_x 1
		.amdhsa_system_sgpr_workgroup_id_y 0
		.amdhsa_system_sgpr_workgroup_id_z 0
		.amdhsa_system_sgpr_workgroup_info 0
		.amdhsa_system_vgpr_workitem_id 0
		.amdhsa_next_free_vgpr 125
		.amdhsa_next_free_sgpr 23
		.amdhsa_reserve_vcc 1
		.amdhsa_reserve_flat_scratch 0
		.amdhsa_float_round_mode_32 0
		.amdhsa_float_round_mode_16_64 0
		.amdhsa_float_denorm_mode_32 3
		.amdhsa_float_denorm_mode_16_64 3
		.amdhsa_dx10_clamp 1
		.amdhsa_ieee_mode 1
		.amdhsa_fp16_overflow 0
		.amdhsa_workgroup_processor_mode 1
		.amdhsa_memory_ordered 1
		.amdhsa_forward_progress 0
		.amdhsa_shared_vgpr_count 0
		.amdhsa_exception_fp_ieee_invalid_op 0
		.amdhsa_exception_fp_denorm_src 0
		.amdhsa_exception_fp_ieee_div_zero 0
		.amdhsa_exception_fp_ieee_overflow 0
		.amdhsa_exception_fp_ieee_underflow 0
		.amdhsa_exception_fp_ieee_inexact 0
		.amdhsa_exception_int_div_zero 0
	.end_amdhsa_kernel
	.text
.Lfunc_end0:
	.size	fft_rtc_fwd_len2160_factors_10_6_6_6_wgs_60_tpt_60_halfLds_half_ip_CI_sbrr_dirReg, .Lfunc_end0-fft_rtc_fwd_len2160_factors_10_6_6_6_wgs_60_tpt_60_halfLds_half_ip_CI_sbrr_dirReg
                                        ; -- End function
	.section	.AMDGPU.csdata,"",@progbits
; Kernel info:
; codeLenInByte = 22052
; NumSgprs: 25
; NumVgprs: 125
; ScratchSize: 0
; MemoryBound: 0
; FloatMode: 240
; IeeeMode: 1
; LDSByteSize: 0 bytes/workgroup (compile time only)
; SGPRBlocks: 3
; VGPRBlocks: 15
; NumSGPRsForWavesPerEU: 25
; NumVGPRsForWavesPerEU: 125
; Occupancy: 8
; WaveLimiterHint : 1
; COMPUTE_PGM_RSRC2:SCRATCH_EN: 0
; COMPUTE_PGM_RSRC2:USER_SGPR: 6
; COMPUTE_PGM_RSRC2:TRAP_HANDLER: 0
; COMPUTE_PGM_RSRC2:TGID_X_EN: 1
; COMPUTE_PGM_RSRC2:TGID_Y_EN: 0
; COMPUTE_PGM_RSRC2:TGID_Z_EN: 0
; COMPUTE_PGM_RSRC2:TIDIG_COMP_CNT: 0
	.text
	.p2alignl 6, 3214868480
	.fill 48, 4, 3214868480
	.type	__hip_cuid_45ef00445ae59cf6,@object ; @__hip_cuid_45ef00445ae59cf6
	.section	.bss,"aw",@nobits
	.globl	__hip_cuid_45ef00445ae59cf6
__hip_cuid_45ef00445ae59cf6:
	.byte	0                               ; 0x0
	.size	__hip_cuid_45ef00445ae59cf6, 1

	.ident	"AMD clang version 19.0.0git (https://github.com/RadeonOpenCompute/llvm-project roc-6.4.0 25133 c7fe45cf4b819c5991fe208aaa96edf142730f1d)"
	.section	".note.GNU-stack","",@progbits
	.addrsig
	.addrsig_sym __hip_cuid_45ef00445ae59cf6
	.amdgpu_metadata
---
amdhsa.kernels:
  - .args:
      - .actual_access:  read_only
        .address_space:  global
        .offset:         0
        .size:           8
        .value_kind:     global_buffer
      - .offset:         8
        .size:           8
        .value_kind:     by_value
      - .actual_access:  read_only
        .address_space:  global
        .offset:         16
        .size:           8
        .value_kind:     global_buffer
      - .actual_access:  read_only
        .address_space:  global
        .offset:         24
        .size:           8
        .value_kind:     global_buffer
      - .offset:         32
        .size:           8
        .value_kind:     by_value
      - .actual_access:  read_only
        .address_space:  global
        .offset:         40
        .size:           8
        .value_kind:     global_buffer
      - .actual_access:  read_only
        .address_space:  global
        .offset:         48
        .size:           8
        .value_kind:     global_buffer
      - .offset:         56
        .size:           4
        .value_kind:     by_value
      - .actual_access:  read_only
        .address_space:  global
        .offset:         64
        .size:           8
        .value_kind:     global_buffer
      - .actual_access:  read_only
        .address_space:  global
        .offset:         72
        .size:           8
        .value_kind:     global_buffer
      - .address_space:  global
        .offset:         80
        .size:           8
        .value_kind:     global_buffer
    .group_segment_fixed_size: 0
    .kernarg_segment_align: 8
    .kernarg_segment_size: 88
    .language:       OpenCL C
    .language_version:
      - 2
      - 0
    .max_flat_workgroup_size: 60
    .name:           fft_rtc_fwd_len2160_factors_10_6_6_6_wgs_60_tpt_60_halfLds_half_ip_CI_sbrr_dirReg
    .private_segment_fixed_size: 0
    .sgpr_count:     25
    .sgpr_spill_count: 0
    .symbol:         fft_rtc_fwd_len2160_factors_10_6_6_6_wgs_60_tpt_60_halfLds_half_ip_CI_sbrr_dirReg.kd
    .uniform_work_group_size: 1
    .uses_dynamic_stack: false
    .vgpr_count:     125
    .vgpr_spill_count: 0
    .wavefront_size: 32
    .workgroup_processor_mode: 1
amdhsa.target:   amdgcn-amd-amdhsa--gfx1030
amdhsa.version:
  - 1
  - 2
...

	.end_amdgpu_metadata
